;; amdgpu-corpus repo=ROCm/rocFFT kind=compiled arch=gfx906 opt=O3
	.text
	.amdgcn_target "amdgcn-amd-amdhsa--gfx906"
	.amdhsa_code_object_version 6
	.protected	bluestein_single_fwd_len16384_dim1_half_op_CI_CI ; -- Begin function bluestein_single_fwd_len16384_dim1_half_op_CI_CI
	.globl	bluestein_single_fwd_len16384_dim1_half_op_CI_CI
	.p2align	8
	.type	bluestein_single_fwd_len16384_dim1_half_op_CI_CI,@function
bluestein_single_fwd_len16384_dim1_half_op_CI_CI: ; @bluestein_single_fwd_len16384_dim1_half_op_CI_CI
; %bb.0:
	s_load_dwordx4 s[16:19], s[4:5], 0x28
	s_mov_b64 s[22:23], s[2:3]
	s_mov_b64 s[20:21], s[0:1]
	s_add_u32 s20, s20, s7
	v_mov_b32_e32 v100, v0
	s_waitcnt lgkmcnt(0)
	v_mov_b32_e32 v0, s16
	v_mov_b32_e32 v1, s17
	s_mov_b32 s7, 0
	v_cmp_lt_u64_e32 vcc, s[6:7], v[0:1]
	s_addc_u32 s21, s21, 0
	s_and_saveexec_b64 s[0:1], vcc
	s_cbranch_execz .LBB0_2
; %bb.1:
	s_load_dwordx4 s[0:3], s[4:5], 0x18
	s_load_dwordx4 s[8:11], s[4:5], 0x0
	v_mov_b32_e32 v2, s6
	v_mov_b32_e32 v4, v2
	;; [unrolled: 1-line block ×3, first 2 shown]
	s_waitcnt lgkmcnt(0)
	s_load_dwordx4 s[12:15], s[0:1], 0x0
	buffer_store_dword v4, off, s[20:23], 0 offset:68 ; 4-byte Folded Spill
	s_nop 0
	buffer_store_dword v5, off, s[20:23], 0 offset:72 ; 4-byte Folded Spill
	v_mov_b32_e32 v7, s19
	s_add_u32 s6, s8, 0x10000
	s_addc_u32 s7, s9, 0
	s_waitcnt lgkmcnt(0)
	v_mad_u64_u32 v[0:1], s[0:1], s14, v2, 0
	v_mad_u64_u32 v[2:3], s[0:1], s12, v100, 0
	v_lshlrev_b32_e32 v83, 2, v100
	global_load_dword v15, v83, s[8:9]
	v_or_b32_e32 v53, 0x2000, v83
	global_load_dword v21, v53, s[8:9]
	v_or_b32_e32 v87, 0x4000, v83
	;; [unrolled: 2-line block ×7, first 2 shown]
	v_or_b32_e32 v80, 0xe800, v83
	v_or_b32_e32 v89, 0x5000, v83
	;; [unrolled: 1-line block ×4, first 2 shown]
	global_load_dword v102, v88, s[8:9]
	global_load_dword v27, v89, s[8:9]
	global_load_dword v106, v90, s[8:9]
	global_load_dword v110, v91, s[8:9]
	global_load_dword v26, v83, s[8:9] offset:2048
	global_load_dword v101, v80, s[8:9]
	v_or_b32_e32 v55, 0x3000, v83
	v_or_b32_e32 v62, 0x9000, v83
	;; [unrolled: 1-line block ×6, first 2 shown]
	global_load_dword v28, v55, s[8:9]
	global_load_dword v113, v57, s[8:9]
	global_load_dword v114, v62, s[8:9]
	global_load_dword v103, v68, s[8:9]
	global_load_dword v112, v59, s[8:9]
	global_load_dword v109, v52, s[8:9]
	v_or_b32_e32 v69, 0x7000, v83
	global_load_dword v115, v69, s[8:9]
	v_or_b32_e32 v72, 0x2800, v83
	v_or_b32_e32 v74, 0x4800, v83
	;; [unrolled: 1-line block ×6, first 2 shown]
	global_load_dword v31, v76, s[8:9]
	global_load_dword v32, v77, s[8:9]
	;; [unrolled: 1-line block ×6, first 2 shown]
	v_or_b32_e32 v67, 0xd000, v83
	v_or_b32_e32 v58, 0x3800, v83
	;; [unrolled: 1-line block ×3, first 2 shown]
	global_load_dword v108, v67, s[8:9]
	global_load_dword v107, v61, s[8:9]
	;; [unrolled: 1-line block ×3, first 2 shown]
	v_or_b32_e32 v51, 0xd800, v83
	global_load_dword v111, v51, s[8:9]
	v_lshlrev_b32_e32 v50, 4, v100
	s_movk_i32 s16, 0x3f80
	v_mad_u64_u32 v[4:5], s[0:1], s15, v4, v[1:2]
	s_lshl_b64 s[14:15], s[12:13], 13
	v_mad_u64_u32 v[5:6], s[0:1], s13, v100, v[3:4]
	v_mov_b32_e32 v1, v4
	v_lshlrev_b64 v[0:1], 2, v[0:1]
	v_mov_b32_e32 v3, v5
	v_add_co_u32_e32 v4, vcc, s18, v0
	v_addc_co_u32_e32 v5, vcc, v7, v1, vcc
	v_lshlrev_b64 v[0:1], 2, v[2:3]
	s_waitcnt vmcnt(29)
	buffer_store_dword v15, off, s[20:23], 0 offset:36 ; 4-byte Folded Spill
	v_add_co_u32_e32 v2, vcc, v4, v0
	v_addc_co_u32_e32 v3, vcc, v5, v1, vcc
	global_load_dword v0, v[2:3], off
	v_mov_b32_e32 v1, s15
	v_add_co_u32_e32 v2, vcc, s14, v2
	v_addc_co_u32_e32 v3, vcc, v3, v1, vcc
	global_load_dword v4, v[2:3], off
	v_add_co_u32_e32 v2, vcc, s14, v2
	v_addc_co_u32_e32 v3, vcc, v3, v1, vcc
	global_load_dword v5, v[2:3], off
	;; [unrolled: 3-line block ×6, first 2 shown]
	v_add_co_u32_e32 v2, vcc, s14, v2
	s_mul_hi_u32 s15, s12, 0xffff2800
	v_addc_co_u32_e32 v3, vcc, v3, v1, vcc
	s_mul_i32 s13, s13, 0xffff2800
	s_sub_i32 s15, s15, s12
	global_load_dword v10, v[2:3], off
	s_add_i32 s13, s15, s13
	s_mul_i32 s12, s12, 0xffff2800
	v_add_co_u32_e32 v2, vcc, s12, v2
	s_waitcnt vmcnt(32)
	buffer_store_dword v16, off, s[20:23], 0 ; 4-byte Folded Spill
	buffer_store_dword v18, off, s[20:23], 0 offset:8 ; 4-byte Folded Spill
	buffer_store_dword v19, off, s[20:23], 0 offset:12 ; 4-byte Folded Spill
	;; [unrolled: 1-line block ×5, first 2 shown]
	s_load_dwordx4 s[0:3], s[2:3], 0x0
	s_waitcnt vmcnt(33)
	buffer_store_dword v26, off, s[20:23], 0 offset:64 ; 4-byte Folded Spill
	s_waitcnt vmcnt(20)
	buffer_store_dword v29, off, s[20:23], 0 offset:60 ; 4-byte Folded Spill
	buffer_store_dword v30, off, s[20:23], 0 offset:56 ; 4-byte Folded Spill
	;; [unrolled: 1-line block ×8, first 2 shown]
	s_movk_i32 s15, 0x1f80
	s_waitcnt vmcnt(22)
	v_lshrrev_b32_e32 v11, 16, v0
	v_mul_f16_sdwa v12, v15, v0 dst_sel:DWORD dst_unused:UNUSED_PAD src0_sel:WORD_1 src1_sel:DWORD
	v_mul_f16_sdwa v13, v15, v11 dst_sel:DWORD dst_unused:UNUSED_PAD src0_sel:WORD_1 src1_sel:DWORD
	v_fma_f16 v11, v15, v11, -v12
	v_fma_f16 v0, v15, v0, v13
	v_pack_b32_f16 v0, v0, v11
	s_waitcnt vmcnt(21)
	v_lshrrev_b32_e32 v12, 16, v4
	v_mul_f16_sdwa v14, v21, v4 dst_sel:DWORD dst_unused:UNUSED_PAD src0_sel:WORD_1 src1_sel:DWORD
	v_mul_f16_sdwa v13, v21, v12 dst_sel:DWORD dst_unused:UNUSED_PAD src0_sel:WORD_1 src1_sel:DWORD
	v_fma_f16 v12, v21, v12, -v14
	v_fma_f16 v4, v21, v4, v13
	s_waitcnt vmcnt(20)
	v_lshrrev_b32_e32 v14, 16, v5
	v_mul_f16_sdwa v15, v20, v5 dst_sel:DWORD dst_unused:UNUSED_PAD src0_sel:WORD_1 src1_sel:DWORD
	v_mul_f16_sdwa v11, v20, v14 dst_sel:DWORD dst_unused:UNUSED_PAD src0_sel:WORD_1 src1_sel:DWORD
	v_fma_f16 v13, v20, v14, -v15
	v_pack_b32_f16 v4, v4, v12
	s_waitcnt vmcnt(19)
	v_lshrrev_b32_e32 v14, 16, v6
	v_mul_f16_sdwa v15, v19, v6 dst_sel:DWORD dst_unused:UNUSED_PAD src0_sel:WORD_1 src1_sel:DWORD
	v_fma_f16 v5, v20, v5, v11
	v_mul_f16_sdwa v11, v19, v14 dst_sel:DWORD dst_unused:UNUSED_PAD src0_sel:WORD_1 src1_sel:DWORD
	v_fma_f16 v12, v19, v14, -v15
	s_waitcnt vmcnt(18)
	v_lshrrev_b32_e32 v14, 16, v7
	v_mul_f16_sdwa v15, v18, v7 dst_sel:DWORD dst_unused:UNUSED_PAD src0_sel:WORD_1 src1_sel:DWORD
	v_fma_f16 v6, v19, v6, v11
	v_mul_f16_sdwa v11, v18, v14 dst_sel:DWORD dst_unused:UNUSED_PAD src0_sel:WORD_1 src1_sel:DWORD
	v_fma_f16 v7, v18, v7, v11
	v_fma_f16 v11, v18, v14, -v15
	v_pack_b32_f16 v7, v7, v11
	s_waitcnt vmcnt(17)
	v_lshrrev_b32_e32 v11, 16, v8
	v_pack_b32_f16 v6, v6, v12
	v_mul_f16_sdwa v12, v17, v11 dst_sel:DWORD dst_unused:UNUSED_PAD src0_sel:WORD_1 src1_sel:DWORD
	v_fma_f16 v12, v17, v8, v12
	v_mul_f16_sdwa v8, v17, v8 dst_sel:DWORD dst_unused:UNUSED_PAD src0_sel:WORD_1 src1_sel:DWORD
	v_fma_f16 v8, v17, v11, -v8
	s_waitcnt vmcnt(16)
	v_lshrrev_b32_e32 v11, 16, v9
	v_pack_b32_f16 v8, v12, v8
	v_mul_f16_sdwa v12, v16, v11 dst_sel:DWORD dst_unused:UNUSED_PAD src0_sel:WORD_1 src1_sel:DWORD
	v_fma_f16 v12, v16, v9, v12
	v_mul_f16_sdwa v9, v16, v9 dst_sel:DWORD dst_unused:UNUSED_PAD src0_sel:WORD_1 src1_sel:DWORD
	v_fma_f16 v9, v16, v11, -v9
	v_pack_b32_f16 v9, v12, v9
	v_mov_b32_e32 v12, s13
	v_addc_co_u32_e32 v3, vcc, v3, v12, vcc
	global_load_dword v12, v[2:3], off
	v_add_co_u32_e32 v2, vcc, s14, v2
	v_addc_co_u32_e32 v3, vcc, v3, v1, vcc
	v_pack_b32_f16 v5, v5, v13
	global_load_dword v13, v[2:3], off
	v_add_co_u32_e32 v2, vcc, s14, v2
	v_addc_co_u32_e32 v3, vcc, v3, v1, vcc
	global_load_dword v14, v[2:3], off
	v_add_co_u32_e32 v2, vcc, s14, v2
	v_addc_co_u32_e32 v3, vcc, v3, v1, vcc
	;; [unrolled: 3-line block ×6, first 2 shown]
	global_load_dword v20, v[2:3], off
	v_mov_b32_e32 v21, s13
	v_add_co_u32_e32 v2, vcc, s12, v2
	v_or_b32_e32 v17, 0x400, v100
	v_addc_co_u32_e32 v3, vcc, v3, v21, vcc
	global_load_dword v21, v[2:3], off
	v_lshlrev_b32_e32 v54, 2, v17
	global_load_dword v35, v54, s[8:9]
	v_add_co_u32_e32 v2, vcc, s14, v2
	v_addc_co_u32_e32 v3, vcc, v3, v1, vcc
	global_load_dword v22, v[2:3], off
	v_add_co_u32_e32 v2, vcc, s14, v2
	v_addc_co_u32_e32 v3, vcc, v3, v1, vcc
	global_load_dword v23, v[2:3], off
	s_waitcnt vmcnt(27)
	v_lshrrev_b32_e32 v11, 16, v10
	v_mul_f16_sdwa v25, v102, v11 dst_sel:DWORD dst_unused:UNUSED_PAD src0_sel:WORD_1 src1_sel:DWORD
	v_fma_f16 v25, v102, v10, v25
	v_mul_f16_sdwa v10, v102, v10 dst_sel:DWORD dst_unused:UNUSED_PAD src0_sel:WORD_1 src1_sel:DWORD
	v_fma_f16 v10, v102, v11, -v10
	v_pack_b32_f16 v10, v25, v10
	v_add_co_u32_e32 v2, vcc, s14, v2
	v_addc_co_u32_e32 v3, vcc, v3, v1, vcc
	global_load_dword v24, v[2:3], off
	v_add_co_u32_e32 v2, vcc, s14, v2
	v_addc_co_u32_e32 v3, vcc, v3, v1, vcc
	s_waitcnt vmcnt(12)
	v_lshrrev_b32_e32 v11, 16, v12
	v_mul_f16_sdwa v25, v26, v11 dst_sel:DWORD dst_unused:UNUSED_PAD src0_sel:WORD_1 src1_sel:DWORD
	v_fma_f16 v25, v26, v12, v25
	v_mul_f16_sdwa v12, v26, v12 dst_sel:DWORD dst_unused:UNUSED_PAD src0_sel:WORD_1 src1_sel:DWORD
	v_fma_f16 v11, v26, v11, -v12
	v_pack_b32_f16 v11, v25, v11
	ds_write2st64_b32 v83, v0, v11 offset1:8
	s_waitcnt vmcnt(11)
	v_lshrrev_b32_e32 v0, 16, v13
	v_mul_f16_sdwa v11, v29, v0 dst_sel:DWORD dst_unused:UNUSED_PAD src0_sel:WORD_1 src1_sel:DWORD
	v_mul_f16_sdwa v12, v29, v13 dst_sel:DWORD dst_unused:UNUSED_PAD src0_sel:WORD_1 src1_sel:DWORD
	v_fma_f16 v11, v29, v13, v11
	v_fma_f16 v0, v29, v0, -v12
	v_pack_b32_f16 v0, v11, v0
	ds_write2st64_b32 v83, v4, v0 offset0:32 offset1:40
	s_waitcnt vmcnt(10)
	v_lshrrev_b32_e32 v0, 16, v14
	v_mul_f16_sdwa v4, v30, v0 dst_sel:DWORD dst_unused:UNUSED_PAD src0_sel:WORD_1 src1_sel:DWORD
	v_mul_f16_sdwa v11, v30, v14 dst_sel:DWORD dst_unused:UNUSED_PAD src0_sel:WORD_1 src1_sel:DWORD
	v_fma_f16 v4, v30, v14, v4
	v_fma_f16 v0, v30, v0, -v11
	v_pack_b32_f16 v0, v4, v0
	ds_write2st64_b32 v83, v5, v0 offset0:64 offset1:72
	;; [unrolled: 8-line block ×6, first 2 shown]
	s_waitcnt vmcnt(5)
	v_lshrrev_b32_e32 v0, 16, v20
	v_mul_f16_sdwa v4, v101, v0 dst_sel:DWORD dst_unused:UNUSED_PAD src0_sel:WORD_1 src1_sel:DWORD
	v_mul_f16_sdwa v5, v101, v20 dst_sel:DWORD dst_unused:UNUSED_PAD src0_sel:WORD_1 src1_sel:DWORD
	v_fma_f16 v4, v101, v20, v4
	v_fma_f16 v0, v101, v0, -v5
	v_pack_b32_f16 v0, v4, v0
	global_load_dword v8, v[2:3], off
	v_or_b32_e32 v18, 0x600, v100
	ds_write2st64_b32 v83, v10, v0 offset0:224 offset1:232
	s_waitcnt vmcnt(5)
	v_lshrrev_b32_e32 v0, 16, v21
	v_add_co_u32_e32 v2, vcc, s14, v2
	v_lshlrev_b32_e32 v56, 2, v18
	global_load_dword v105, v56, s[8:9]
	s_waitcnt vmcnt(5)
	v_mul_f16_sdwa v4, v35, v0 dst_sel:DWORD dst_unused:UNUSED_PAD src0_sel:WORD_1 src1_sel:DWORD
	v_mul_f16_sdwa v5, v35, v21 dst_sel:DWORD dst_unused:UNUSED_PAD src0_sel:WORD_1 src1_sel:DWORD
	v_addc_co_u32_e32 v3, vcc, v3, v1, vcc
	v_fma_f16 v4, v35, v21, v4
	v_fma_f16 v0, v35, v0, -v5
	global_load_dword v9, v[2:3], off
	v_pack_b32_f16 v4, v4, v0
	s_waitcnt vmcnt(5)
	v_lshrrev_b32_e32 v0, 16, v22
	v_add_co_u32_e32 v2, vcc, s14, v2
	v_mul_f16_sdwa v5, v28, v0 dst_sel:DWORD dst_unused:UNUSED_PAD src0_sel:WORD_1 src1_sel:DWORD
	v_mul_f16_sdwa v6, v28, v22 dst_sel:DWORD dst_unused:UNUSED_PAD src0_sel:WORD_1 src1_sel:DWORD
	v_addc_co_u32_e32 v3, vcc, v3, v1, vcc
	v_fma_f16 v5, v28, v22, v5
	v_fma_f16 v0, v28, v0, -v6
	global_load_dword v10, v[2:3], off
	v_pack_b32_f16 v5, v5, v0
	s_waitcnt vmcnt(5)
	v_lshrrev_b32_e32 v0, 16, v23
	v_add_co_u32_e32 v2, vcc, s14, v2
	v_mul_f16_sdwa v6, v27, v0 dst_sel:DWORD dst_unused:UNUSED_PAD src0_sel:WORD_1 src1_sel:DWORD
	v_mul_f16_sdwa v7, v27, v23 dst_sel:DWORD dst_unused:UNUSED_PAD src0_sel:WORD_1 src1_sel:DWORD
	v_addc_co_u32_e32 v3, vcc, v3, v1, vcc
	v_fma_f16 v6, v27, v23, v6
	v_fma_f16 v0, v27, v0, -v7
	global_load_dword v11, v[2:3], off
	v_pack_b32_f16 v6, v6, v0
	v_mov_b32_e32 v0, s13
	v_add_co_u32_e32 v2, vcc, s12, v2
	v_addc_co_u32_e32 v3, vcc, v3, v0, vcc
	global_load_dword v12, v[2:3], off
	v_add_co_u32_e32 v2, vcc, s14, v2
	v_addc_co_u32_e32 v3, vcc, v3, v1, vcc
	global_load_dword v13, v[2:3], off
	v_add_co_u32_e32 v2, vcc, s14, v2
	v_addc_co_u32_e32 v3, vcc, v3, v1, vcc
	global_load_dword v14, v[2:3], off
	v_add_co_u32_e32 v2, vcc, s14, v2
	v_addc_co_u32_e32 v3, vcc, v3, v1, vcc
	global_load_dword v15, v[2:3], off
	v_add_co_u32_e32 v2, vcc, s14, v2
	v_addc_co_u32_e32 v3, vcc, v3, v1, vcc
	global_load_dword v16, v[2:3], off
	v_add_co_u32_e32 v2, vcc, s14, v2
	v_addc_co_u32_e32 v3, vcc, v3, v1, vcc
	global_load_dword v19, v[2:3], off
	v_add_co_u32_e32 v2, vcc, s14, v2
	v_addc_co_u32_e32 v3, vcc, v3, v1, vcc
	global_load_dword v20, v[2:3], off
	v_add_co_u32_e32 v0, vcc, s14, v2
	v_addc_co_u32_e32 v1, vcc, v3, v1, vcc
	global_load_dword v0, v[0:1], off
	s_waitcnt vmcnt(13)
	v_lshrrev_b32_e32 v7, 16, v24
	v_mul_f16_sdwa v1, v115, v7 dst_sel:DWORD dst_unused:UNUSED_PAD src0_sel:WORD_1 src1_sel:DWORD
	v_mul_f16_sdwa v2, v115, v24 dst_sel:DWORD dst_unused:UNUSED_PAD src0_sel:WORD_1 src1_sel:DWORD
	v_fma_f16 v1, v115, v24, v1
	v_fma_f16 v2, v115, v7, -v2
	v_pack_b32_f16 v1, v1, v2
	s_waitcnt vmcnt(12)
	v_lshrrev_b32_e32 v2, 16, v8
	v_mul_f16_sdwa v3, v114, v2 dst_sel:DWORD dst_unused:UNUSED_PAD src0_sel:WORD_1 src1_sel:DWORD
	v_mul_f16_sdwa v7, v114, v8 dst_sel:DWORD dst_unused:UNUSED_PAD src0_sel:WORD_1 src1_sel:DWORD
	v_fma_f16 v3, v114, v8, v3
	v_fma_f16 v2, v114, v2, -v7
	v_pack_b32_f16 v2, v3, v2
	buffer_store_dword v35, off, s[20:23], 0 offset:32 ; 4-byte Folded Spill
	s_mov_b32 s8, 0xb9a8
	s_movk_i32 s9, 0x39a8
	s_waitcnt vmcnt(11)
	v_lshrrev_b32_e32 v3, 16, v9
	v_mul_f16_sdwa v7, v113, v3 dst_sel:DWORD dst_unused:UNUSED_PAD src0_sel:WORD_1 src1_sel:DWORD
	v_mul_f16_sdwa v8, v113, v9 dst_sel:DWORD dst_unused:UNUSED_PAD src0_sel:WORD_1 src1_sel:DWORD
	v_fma_f16 v7, v113, v9, v7
	v_fma_f16 v3, v113, v3, -v8
	v_pack_b32_f16 v3, v7, v3
	s_movk_i32 s14, 0x361f
	s_waitcnt vmcnt(10)
	v_lshrrev_b32_e32 v7, 16, v10
	v_mul_f16_sdwa v8, v108, v7 dst_sel:DWORD dst_unused:UNUSED_PAD src0_sel:WORD_1 src1_sel:DWORD
	v_mul_f16_sdwa v9, v108, v10 dst_sel:DWORD dst_unused:UNUSED_PAD src0_sel:WORD_1 src1_sel:DWORD
	v_fma_f16 v8, v108, v10, v8
	v_fma_f16 v7, v108, v7, -v9
	v_pack_b32_f16 v7, v8, v7
	s_waitcnt vmcnt(9)
	v_lshrrev_b32_e32 v8, 16, v11
	v_mul_f16_sdwa v9, v103, v8 dst_sel:DWORD dst_unused:UNUSED_PAD src0_sel:WORD_1 src1_sel:DWORD
	v_mul_f16_sdwa v10, v103, v11 dst_sel:DWORD dst_unused:UNUSED_PAD src0_sel:WORD_1 src1_sel:DWORD
	v_fma_f16 v9, v103, v11, v9
	v_fma_f16 v8, v103, v8, -v10
	v_pack_b32_f16 v8, v9, v8
	;; [unrolled: 7-line block ×3, first 2 shown]
	ds_write2st64_b32 v83, v4, v9 offset0:16 offset1:24
	s_waitcnt vmcnt(7)
	v_lshrrev_b32_e32 v4, 16, v13
	v_mul_f16_sdwa v9, v104, v4 dst_sel:DWORD dst_unused:UNUSED_PAD src0_sel:WORD_1 src1_sel:DWORD
	v_mul_f16_sdwa v10, v104, v13 dst_sel:DWORD dst_unused:UNUSED_PAD src0_sel:WORD_1 src1_sel:DWORD
	v_fma_f16 v9, v104, v13, v9
	v_fma_f16 v4, v104, v4, -v10
	v_pack_b32_f16 v4, v9, v4
	ds_write2st64_b32 v83, v5, v4 offset0:48 offset1:56
	s_waitcnt vmcnt(6)
	v_lshrrev_b32_e32 v4, 16, v14
	v_mul_f16_sdwa v5, v106, v4 dst_sel:DWORD dst_unused:UNUSED_PAD src0_sel:WORD_1 src1_sel:DWORD
	v_mul_f16_sdwa v9, v106, v14 dst_sel:DWORD dst_unused:UNUSED_PAD src0_sel:WORD_1 src1_sel:DWORD
	v_fma_f16 v5, v106, v14, v5
	v_fma_f16 v4, v106, v4, -v9
	v_pack_b32_f16 v4, v5, v4
	;; [unrolled: 8-line block ×6, first 2 shown]
	ds_write2st64_b32 v83, v7, v1 offset0:208 offset1:216
	s_waitcnt vmcnt(1)
	v_lshrrev_b32_e32 v1, 16, v0
	v_mul_f16_sdwa v2, v112, v1 dst_sel:DWORD dst_unused:UNUSED_PAD src0_sel:WORD_1 src1_sel:DWORD
	v_fma_f16 v2, v112, v0, v2
	v_mul_f16_sdwa v0, v112, v0 dst_sel:DWORD dst_unused:UNUSED_PAD src0_sel:WORD_1 src1_sel:DWORD
	v_fma_f16 v0, v112, v1, -v0
	v_pack_b32_f16 v0, v2, v0
	ds_write2st64_b32 v83, v8, v0 offset0:240 offset1:248
	s_waitcnt vmcnt(0) lgkmcnt(0)
	s_barrier
	ds_read2st64_b32 v[19:20], v83 offset1:8
	ds_read2st64_b32 v[21:22], v83 offset0:32 offset1:40
	ds_read2st64_b32 v[28:29], v83 offset0:64 offset1:72
	;; [unrolled: 1-line block ×7, first 2 shown]
	s_waitcnt lgkmcnt(7)
	v_lshrrev_b32_e32 v0, 16, v19
	s_waitcnt lgkmcnt(3)
	v_sub_f16_e32 v32, v19, v15
	v_lshrrev_b32_e32 v24, 16, v28
	v_lshrrev_b32_e32 v25, 16, v33
	v_sub_f16_sdwa v15, v0, v15 dst_sel:DWORD dst_unused:UNUSED_PAD src0_sel:DWORD src1_sel:WORD_1
	s_waitcnt lgkmcnt(1)
	v_sub_f16_e32 v45, v28, v35
	v_lshrrev_b32_e32 v23, 16, v21
	v_sub_f16_sdwa v35, v24, v35 dst_sel:DWORD dst_unused:UNUSED_PAD src0_sel:DWORD src1_sel:WORD_1
	v_sub_f16_e32 v46, v21, v30
	s_waitcnt lgkmcnt(0)
	v_sub_f16_e32 v64, v33, v37
	v_sub_f16_sdwa v37, v25, v37 dst_sel:DWORD dst_unused:UNUSED_PAD src0_sel:DWORD src1_sel:WORD_1
	v_add_f16_e32 v65, v15, v45
	v_fma_f16 v0, v0, 2.0, -v15
	v_fma_f16 v24, v24, 2.0, -v35
	v_sub_f16_sdwa v30, v23, v30 dst_sel:DWORD dst_unused:UNUSED_PAD src0_sel:DWORD src1_sel:WORD_1
	v_sub_f16_e32 v35, v32, v35
	v_fma_f16 v81, v15, 2.0, -v65
	v_sub_f16_e32 v15, v46, v37
	v_fma_f16 v25, v25, 2.0, -v37
	v_fma_f16 v66, v32, 2.0, -v35
	v_add_f16_e32 v37, v30, v64
	v_fma_f16 v40, v46, 2.0, -v15
	v_fma_f16 v23, v23, 2.0, -v30
	;; [unrolled: 1-line block ×3, first 2 shown]
	v_fma_f16 v39, v40, s8, v66
	v_fma_f16 v43, v30, s8, v81
	;; [unrolled: 1-line block ×6, first 2 shown]
	v_fma_f16 v19, v19, 2.0, -v32
	v_fma_f16 v28, v28, 2.0, -v45
	;; [unrolled: 1-line block ×4, first 2 shown]
	v_sub_f16_e32 v28, v19, v28
	v_sub_f16_e32 v30, v21, v30
	v_lshrrev_b32_e32 v48, 16, v29
	v_sub_f16_e32 v82, v20, v16
	v_fma_f16 v19, v19, 2.0, -v28
	v_sub_f16_e32 v25, v23, v25
	v_fma_f16 v21, v21, 2.0, -v30
	v_lshrrev_b32_e32 v26, 16, v20
	v_lshrrev_b32_e32 v47, 16, v22
	;; [unrolled: 1-line block ×3, first 2 shown]
	v_sub_f16_e32 v32, v0, v24
	v_fma_f16 v24, v23, 2.0, -v25
	v_sub_f16_e32 v23, v19, v21
	v_sub_f16_e32 v45, v28, v25
	v_fma_f16 v25, v20, 2.0, -v82
	v_sub_f16_sdwa v20, v48, v36 dst_sel:DWORD dst_unused:UNUSED_PAD src0_sel:DWORD src1_sel:WORD_1
	v_sub_f16_e32 v21, v22, v31
	ds_read2st64_b32 v[7:8], v83 offset0:16 offset1:24
	ds_read2st64_b32 v[3:4], v83 offset0:48 offset1:56
	;; [unrolled: 1-line block ×4, first 2 shown]
	v_fma_f16 v44, v37, s9, v65
	v_sub_f16_sdwa v116, v26, v16 dst_sel:DWORD dst_unused:UNUSED_PAD src0_sel:DWORD src1_sel:WORD_1
	v_fma_f16 v64, v19, 2.0, -v23
	v_add_f16_e32 v46, v32, v30
	v_sub_f16_e32 v19, v29, v36
	v_fma_f16 v33, v48, 2.0, -v20
	v_sub_f16_sdwa v48, v47, v31 dst_sel:DWORD dst_unused:UNUSED_PAD src0_sel:DWORD src1_sel:WORD_1
	v_fma_f16 v30, v22, 2.0, -v21
	v_sub_f16_e32 v22, v34, v38
	v_sub_f16_sdwa v38, v49, v38 dst_sel:DWORD dst_unused:UNUSED_PAD src0_sel:DWORD src1_sel:WORD_1
	ds_read2st64_b32 v[13:14], v83 offset0:144 offset1:152
	ds_read2st64_b32 v[9:10], v83 offset0:176 offset1:184
	;; [unrolled: 1-line block ×3, first 2 shown]
	v_fma_f16 v44, v15, s9, v44
	ds_read2st64_b32 v[15:16], v83 offset0:240 offset1:248
	v_fma_f16 v0, v0, 2.0, -v32
	v_fma_f16 v117, v28, 2.0, -v45
	;; [unrolled: 1-line block ×6, first 2 shown]
	v_sub_f16_e32 v28, v82, v20
	v_add_f16_e32 v29, v116, v19
	v_sub_f16_e32 v38, v21, v38
	v_add_f16_e32 v22, v48, v22
	v_fma_f16 v119, v35, 2.0, -v43
	v_fma_f16 v34, v82, 2.0, -v28
	;; [unrolled: 1-line block ×6, first 2 shown]
	v_fma_f16 v21, v20, s8, v34
	v_fma_f16 v47, v19, s8, v35
	s_waitcnt lgkmcnt(7)
	v_lshrrev_b32_e32 v63, 16, v7
	v_sub_f16_e32 v24, v0, v24
	v_fma_f16 v19, v19, s8, v21
	v_fma_f16 v20, v20, s9, v47
	;; [unrolled: 1-line block ×4, first 2 shown]
	s_waitcnt lgkmcnt(5)
	v_lshrrev_b32_e32 v42, 16, v5
	s_waitcnt lgkmcnt(4)
	v_lshrrev_b32_e32 v27, 16, v1
	v_fma_f16 v0, v0, 2.0, -v24
	v_fma_f16 v21, v22, s8, v21
	v_fma_f16 v22, v38, s9, v47
	s_waitcnt lgkmcnt(3)
	v_sub_f16_e32 v47, v7, v13
	v_sub_f16_sdwa v13, v63, v13 dst_sel:DWORD dst_unused:UNUSED_PAD src0_sel:DWORD src1_sel:WORD_1
	v_lshrrev_b32_e32 v41, 16, v3
	v_fma_f16 v38, v63, 2.0, -v13
	v_pack_b32_f16 v120, v117, v118
	s_waitcnt lgkmcnt(1)
	v_sub_f16_e32 v48, v5, v11
	v_sub_f16_sdwa v11, v42, v11 dst_sel:DWORD dst_unused:UNUSED_PAD src0_sel:DWORD src1_sel:WORD_1
	v_sub_f16_e32 v63, v3, v9
	v_pack_b32_f16 v118, v64, v0
	s_waitcnt lgkmcnt(0)
	v_sub_f16_e32 v0, v1, v15
	v_sub_f16_sdwa v15, v27, v15 dst_sel:DWORD dst_unused:UNUSED_PAD src0_sel:DWORD src1_sel:WORD_1
	v_fma_f16 v66, v66, 2.0, -v39
	v_fma_f16 v81, v81, 2.0, -v40
	;; [unrolled: 1-line block ×3, first 2 shown]
	v_sub_f16_sdwa v9, v41, v9 dst_sel:DWORD dst_unused:UNUSED_PAD src0_sel:DWORD src1_sel:WORD_1
	v_fma_f16 v27, v27, 2.0, -v15
	v_sub_f16_e32 v64, v47, v11
	v_sub_f16_e32 v15, v63, v15
	v_pack_b32_f16 v121, v119, v65
	v_fma_f16 v49, v42, 2.0, -v11
	v_pack_b32_f16 v119, v66, v81
	v_fma_f16 v65, v41, 2.0, -v9
	v_add_f16_e32 v66, v13, v48
	v_pack_b32_f16 v42, v43, v44
	v_pack_b32_f16 v41, v45, v46
	v_fma_f16 v43, v47, 2.0, -v64
	v_add_f16_e32 v45, v9, v0
	v_fma_f16 v11, v63, 2.0, -v15
	v_fma_f16 v44, v13, 2.0, -v66
	;; [unrolled: 1-line block ×3, first 2 shown]
	v_fma_f16 v9, v11, s8, v43
	v_fma_f16 v9, v13, s8, v9
	;; [unrolled: 1-line block ×3, first 2 shown]
	v_pack_b32_f16 v40, v39, v40
	v_fma_f16 v11, v11, s9, v13
	v_fma_f16 v13, v15, s9, v64
	v_fma_f16 v39, v45, s9, v66
	v_lshrrev_b32_e32 v46, 16, v6
	v_sub_f16_e32 v81, v4, v10
	v_fma_f16 v63, v3, 2.0, -v63
	v_lshrrev_b32_e32 v3, 16, v2
	v_lshlrev_b32_e32 v117, 5, v100
	v_fma_f16 v13, v45, s8, v13
	v_fma_f16 v15, v15, s9, v39
	v_lshrrev_b32_e32 v39, 16, v8
	v_sub_f16_e32 v45, v8, v14
	v_fma_f16 v7, v7, 2.0, -v47
	v_sub_f16_e32 v47, v6, v12
	v_sub_f16_sdwa v12, v46, v12 dst_sel:DWORD dst_unused:UNUSED_PAD src0_sel:DWORD src1_sel:WORD_1
	v_fma_f16 v5, v5, 2.0, -v48
	v_lshrrev_b32_e32 v48, 16, v4
	v_fma_f16 v82, v4, 2.0, -v81
	v_sub_f16_e32 v4, v2, v16
	v_sub_f16_sdwa v16, v3, v16 dst_sel:DWORD dst_unused:UNUSED_PAD src0_sel:DWORD src1_sel:WORD_1
	v_fma_f16 v26, v26, 2.0, -v116
	s_barrier
	ds_write_b128 v117, v[118:121]
	v_sub_f16_sdwa v14, v39, v14 dst_sel:DWORD dst_unused:UNUSED_PAD src0_sel:DWORD src1_sel:WORD_1
	v_sub_f16_sdwa v10, v48, v10 dst_sel:DWORD dst_unused:UNUSED_PAD src0_sel:DWORD src1_sel:WORD_1
	v_fma_f16 v116, v46, 2.0, -v12
	v_fma_f16 v119, v3, 2.0, -v16
	v_sub_f16_e32 v12, v45, v12
	v_sub_f16_e32 v16, v81, v16
	v_fma_f16 v8, v8, 2.0, -v45
	v_fma_f16 v6, v6, 2.0, -v47
	;; [unrolled: 1-line block ×3, first 2 shown]
	v_add_f16_e32 v47, v14, v47
	v_fma_f16 v45, v45, 2.0, -v12
	v_add_f16_e32 v4, v10, v4
	v_fma_f16 v2, v81, 2.0, -v16
	v_fma_f16 v0, v1, 2.0, -v0
	;; [unrolled: 1-line block ×5, first 2 shown]
	v_fma_f16 v1, v2, s8, v45
	v_fma_f16 v1, v3, s8, v1
	;; [unrolled: 1-line block ×5, first 2 shown]
	v_fma_f16 v48, v48, 2.0, -v10
	v_fma_f16 v3, v4, s8, v3
	v_fma_f16 v4, v4, s9, v47
	v_sub_f16_e32 v10, v25, v32
	v_sub_f16_e32 v32, v30, v36
	;; [unrolled: 1-line block ×6, first 2 shown]
	v_fma_f16 v4, v16, s9, v4
	v_sub_f16_e32 v16, v26, v33
	v_sub_f16_e32 v33, v31, v37
	v_fma_f16 v7, v7, 2.0, -v5
	v_fma_f16 v37, v38, 2.0, -v36
	;; [unrolled: 1-line block ×4, first 2 shown]
	v_sub_f16_e32 v27, v5, v27
	v_sub_f16_e32 v38, v7, v38
	v_fma_f16 v65, v5, 2.0, -v27
	v_sub_f16_e32 v5, v8, v6
	v_sub_f16_e32 v6, v39, v116
	v_fma_f16 v25, v25, 2.0, -v10
	v_fma_f16 v26, v26, 2.0, -v16
	;; [unrolled: 1-line block ×7, first 2 shown]
	v_sub_f16_e32 v39, v82, v118
	v_sub_f16_e32 v81, v48, v119
	;; [unrolled: 1-line block ×5, first 2 shown]
	v_add_f16_e32 v32, v16, v32
	v_fma_f16 v82, v82, 2.0, -v39
	v_fma_f16 v48, v48, 2.0, -v81
	;; [unrolled: 1-line block ×10, first 2 shown]
	v_sub_f16_e32 v82, v7, v82
	v_sub_f16_e32 v48, v8, v48
	;; [unrolled: 1-line block ×3, first 2 shown]
	v_add_f16_e32 v119, v6, v39
	v_or_b32_e32 v46, 0x200, v100
	v_sub_f16_e32 v49, v37, v49
	v_add_f16_e32 v0, v36, v0
	v_fma_f16 v116, v7, 2.0, -v82
	v_fma_f16 v118, v8, 2.0, -v48
	;; [unrolled: 1-line block ×4, first 2 shown]
	v_pack_b32_f16 v8, v28, v29
	v_pack_b32_f16 v7, v10, v16
	;; [unrolled: 1-line block ×4, first 2 shown]
	v_fma_f16 v37, v37, 2.0, -v49
	v_fma_f16 v43, v43, 2.0, -v9
	;; [unrolled: 1-line block ×6, first 2 shown]
	v_lshlrev_b32_e32 v92, 5, v46
	ds_write_b128 v117, v[5:8] offset:16384
	v_pack_b32_f16 v8, v21, v22
	v_pack_b32_f16 v7, v33, v32
	;; [unrolled: 1-line block ×5, first 2 shown]
	ds_write_b128 v92, v[5:8] offset:16
	v_pack_b32_f16 v8, v64, v66
	v_pack_b32_f16 v7, v65, v36
	;; [unrolled: 1-line block ×4, first 2 shown]
	v_fma_f16 v45, v45, 2.0, -v1
	v_fma_f16 v14, v14, 2.0, -v2
	ds_write_b128 v117, v[39:42] offset:16
	v_lshlrev_b32_e32 v10, 5, v17
	ds_write_b128 v117, v[5:8] offset:32768
	v_pack_b32_f16 v8, v13, v15
	v_pack_b32_f16 v7, v27, v0
	;; [unrolled: 1-line block ×4, first 2 shown]
	v_and_b32_e32 v42, 7, v100
	ds_write_b128 v10, v[5:8] offset:16
	v_pack_b32_f16 v6, v45, v14
	v_mad_u64_u32 v[13:14], s[12:13], v42, 60, s[10:11]
	v_fma_f16 v12, v12, 2.0, -v3
	v_fma_f16 v47, v47, 2.0, -v4
	v_lshlrev_b32_e32 v0, 5, v18
	v_pack_b32_f16 v8, v12, v47
	v_pack_b32_f16 v7, v120, v121
	;; [unrolled: 1-line block ×7, first 2 shown]
	buffer_store_dword v10, off, s[20:23], 0 offset:88 ; 4-byte Folded Spill
	buffer_store_dword v0, off, s[20:23], 0 offset:76 ; 4-byte Folded Spill
	ds_write_b128 v117, v[5:8] offset:49152
	ds_write_b128 v0, v[1:4] offset:16
	s_waitcnt vmcnt(0) lgkmcnt(0)
	s_barrier
	global_load_dwordx4 v[9:12], v[13:14], off
	global_load_dwordx4 v[5:8], v[13:14], off offset:16
	global_load_dwordx4 v[63:66], v[13:14], off offset:32
	global_load_dwordx3 v[17:19], v[13:14], off offset:48
	ds_read2st64_b32 v[13:14], v83 offset1:8
	ds_read2st64_b32 v[32:33], v83 offset0:16 offset1:24
	ds_read2st64_b32 v[30:31], v83 offset0:32 offset1:40
	;; [unrolled: 1-line block ×8, first 2 shown]
	s_waitcnt lgkmcnt(4)
	v_lshrrev_b32_e32 v4, 16, v26
	v_lshrrev_b32_e32 v1, 16, v32
	;; [unrolled: 1-line block ×4, first 2 shown]
	s_waitcnt lgkmcnt(3)
	v_lshrrev_b32_e32 v34, 16, v24
	s_waitcnt lgkmcnt(2)
	v_lshrrev_b32_e32 v35, 16, v22
	s_waitcnt lgkmcnt(1)
	v_lshrrev_b32_e32 v36, 16, v20
	s_waitcnt lgkmcnt(0)
	v_lshrrev_b32_e32 v37, 16, v15
	v_lshrrev_b32_e32 v0, 16, v13
	ds_read2st64_b32 v[40:41], v83 offset0:48 offset1:56
	s_mov_b32 s13, 0xbb64
	s_mov_b32 s12, 0xb61f
	s_waitcnt vmcnt(3)
	v_mul_f16_sdwa v38, v1, v9 dst_sel:DWORD dst_unused:UNUSED_PAD src0_sel:DWORD src1_sel:WORD_1
	v_fma_f16 v43, v32, v9, -v38
	v_mul_f16_sdwa v32, v32, v9 dst_sel:DWORD dst_unused:UNUSED_PAD src0_sel:DWORD src1_sel:WORD_1
	v_fma_f16 v1, v1, v9, v32
	v_mul_f16_sdwa v32, v2, v10 dst_sel:DWORD dst_unused:UNUSED_PAD src0_sel:DWORD src1_sel:WORD_1
	v_fma_f16 v32, v30, v10, -v32
	v_mul_f16_sdwa v30, v30, v10 dst_sel:DWORD dst_unused:UNUSED_PAD src0_sel:DWORD src1_sel:WORD_1
	v_fma_f16 v2, v2, v10, v30
	;; [unrolled: 4-line block ×3, first 2 shown]
	s_waitcnt vmcnt(2)
	v_mul_f16_sdwa v28, v4, v6 dst_sel:DWORD dst_unused:UNUSED_PAD src0_sel:DWORD src1_sel:WORD_1
	v_fma_f16 v28, v26, v6, -v28
	v_mul_f16_sdwa v26, v26, v6 dst_sel:DWORD dst_unused:UNUSED_PAD src0_sel:DWORD src1_sel:WORD_1
	v_fma_f16 v4, v4, v6, v26
	v_mul_f16_sdwa v26, v34, v8 dst_sel:DWORD dst_unused:UNUSED_PAD src0_sel:DWORD src1_sel:WORD_1
	v_fma_f16 v26, v24, v8, -v26
	v_mul_f16_sdwa v24, v24, v8 dst_sel:DWORD dst_unused:UNUSED_PAD src0_sel:DWORD src1_sel:WORD_1
	v_fma_f16 v24, v34, v8, v24
	s_waitcnt vmcnt(1)
	v_mul_f16_sdwa v34, v35, v64 dst_sel:DWORD dst_unused:UNUSED_PAD src0_sel:DWORD src1_sel:WORD_1
	v_fma_f16 v34, v22, v64, -v34
	v_mul_f16_sdwa v22, v22, v64 dst_sel:DWORD dst_unused:UNUSED_PAD src0_sel:DWORD src1_sel:WORD_1
	v_fma_f16 v22, v35, v64, v22
	v_mul_f16_sdwa v35, v36, v66 dst_sel:DWORD dst_unused:UNUSED_PAD src0_sel:DWORD src1_sel:WORD_1
	v_fma_f16 v35, v20, v66, -v35
	v_mul_f16_sdwa v20, v20, v66 dst_sel:DWORD dst_unused:UNUSED_PAD src0_sel:DWORD src1_sel:WORD_1
	v_fma_f16 v20, v36, v66, v20
	s_waitcnt vmcnt(0)
	v_mul_f16_sdwa v36, v37, v18 dst_sel:DWORD dst_unused:UNUSED_PAD src0_sel:DWORD src1_sel:WORD_1
	v_fma_f16 v36, v15, v18, -v36
	v_mul_f16_sdwa v15, v15, v18 dst_sel:DWORD dst_unused:UNUSED_PAD src0_sel:DWORD src1_sel:WORD_1
	v_fma_f16 v15, v37, v18, v15
	v_sub_f16_e32 v48, v13, v26
	v_sub_f16_e32 v26, v30, v35
	;; [unrolled: 1-line block ×4, first 2 shown]
	v_fma_f16 v81, v30, 2.0, -v26
	v_sub_f16_e32 v30, v32, v34
	v_sub_f16_e32 v34, v4, v15
	v_fma_f16 v3, v3, 2.0, -v20
	v_sub_f16_e32 v22, v2, v22
	v_fma_f16 v82, v32, 2.0, -v30
	v_sub_f16_e32 v32, v28, v36
	v_sub_f16_e32 v15, v48, v20
	v_add_f16_e32 v20, v24, v26
	v_sub_f16_e32 v26, v30, v34
	v_fma_f16 v0, v0, 2.0, -v24
	v_fma_f16 v116, v28, 2.0, -v32
	;; [unrolled: 1-line block ×4, first 2 shown]
	v_add_f16_e32 v28, v22, v32
	v_fma_f16 v24, v30, 2.0, -v26
	v_fma_f16 v2, v2, 2.0, -v22
	;; [unrolled: 1-line block ×3, first 2 shown]
	v_fma_f16 v22, v24, s8, v45
	v_fma_f16 v22, v30, s8, v22
	;; [unrolled: 1-line block ×4, first 2 shown]
	s_waitcnt lgkmcnt(0)
	v_lshrrev_b32_e32 v30, 16, v40
	v_mul_f16_sdwa v32, v40, v11 dst_sel:DWORD dst_unused:UNUSED_PAD src0_sel:DWORD src1_sel:WORD_1
	v_fma_f16 v32, v30, v11, v32
	v_mul_f16_sdwa v30, v30, v11 dst_sel:DWORD dst_unused:UNUSED_PAD src0_sel:DWORD src1_sel:WORD_1
	v_fma_f16 v30, v40, v11, -v30
	ds_read2st64_b32 v[39:40], v83 offset0:80 offset1:88
	v_fma_f16 v4, v4, 2.0, -v34
	v_fma_f16 v118, v118, 2.0, -v24
	;; [unrolled: 1-line block ×3, first 2 shown]
	v_sub_f16_e32 v48, v13, v81
	s_waitcnt lgkmcnt(0)
	v_lshrrev_b32_e32 v34, 16, v39
	v_mul_f16_sdwa v35, v39, v5 dst_sel:DWORD dst_unused:UNUSED_PAD src0_sel:DWORD src1_sel:WORD_1
	v_fma_f16 v44, v34, v5, v35
	v_mul_f16_sdwa v34, v34, v5 dst_sel:DWORD dst_unused:UNUSED_PAD src0_sel:DWORD src1_sel:WORD_1
	v_fma_f16 v47, v39, v5, -v34
	ds_read2st64_b32 v[38:39], v83 offset0:112 offset1:120
	v_sub_f16_e32 v3, v0, v3
	v_fma_f16 v13, v13, 2.0, -v48
	v_fma_f16 v0, v0, 2.0, -v3
	s_waitcnt lgkmcnt(0)
	v_lshrrev_b32_e32 v34, 16, v38
	v_mul_f16_sdwa v35, v38, v7 dst_sel:DWORD dst_unused:UNUSED_PAD src0_sel:DWORD src1_sel:WORD_1
	v_fma_f16 v49, v34, v7, v35
	v_mul_f16_sdwa v34, v34, v7 dst_sel:DWORD dst_unused:UNUSED_PAD src0_sel:DWORD src1_sel:WORD_1
	v_fma_f16 v119, v38, v7, -v34
	ds_read2st64_b32 v[37:38], v83 offset0:144 offset1:152
	s_waitcnt lgkmcnt(0)
	v_lshrrev_b32_e32 v34, 16, v37
	v_mul_f16_sdwa v35, v37, v63 dst_sel:DWORD dst_unused:UNUSED_PAD src0_sel:DWORD src1_sel:WORD_1
	v_fma_f16 v120, v34, v63, v35
	v_mul_f16_sdwa v34, v34, v63 dst_sel:DWORD dst_unused:UNUSED_PAD src0_sel:DWORD src1_sel:WORD_1
	v_fma_f16 v121, v37, v63, -v34
	ds_read2st64_b32 v[36:37], v83 offset0:176 offset1:184
	v_sub_f16_e32 v121, v43, v121
	v_sub_f16_e32 v120, v1, v120
	v_fma_f16 v1, v1, 2.0, -v120
	s_waitcnt lgkmcnt(0)
	v_lshrrev_b32_e32 v34, 16, v36
	v_mul_f16_sdwa v35, v36, v65 dst_sel:DWORD dst_unused:UNUSED_PAD src0_sel:DWORD src1_sel:WORD_1
	v_fma_f16 v122, v34, v65, v35
	v_mul_f16_sdwa v34, v34, v65 dst_sel:DWORD dst_unused:UNUSED_PAD src0_sel:DWORD src1_sel:WORD_1
	v_fma_f16 v123, v36, v65, -v34
	ds_read2st64_b32 v[35:36], v83 offset0:208 offset1:216
	v_sub_f16_e32 v122, v32, v122
	v_fma_f16 v84, v32, 2.0, -v122
	s_waitcnt lgkmcnt(0)
	v_lshrrev_b32_e32 v34, 16, v35
	v_mul_f16_sdwa v124, v35, v17 dst_sel:DWORD dst_unused:UNUSED_PAD src0_sel:DWORD src1_sel:WORD_1
	v_fma_f16 v124, v34, v17, v124
	v_mul_f16_sdwa v34, v34, v17 dst_sel:DWORD dst_unused:UNUSED_PAD src0_sel:DWORD src1_sel:WORD_1
	v_fma_f16 v126, v35, v17, -v34
	ds_read2st64_b32 v[34:35], v83 offset0:240 offset1:248
	v_sub_f16_e32 v124, v44, v124
	v_fma_f16 v125, v44, 2.0, -v124
	v_sub_f16_e32 v44, v30, v123
	v_fma_f16 v123, v30, 2.0, -v44
	s_waitcnt lgkmcnt(0)
	v_lshrrev_b32_e32 v127, 16, v34
	v_mul_f16_sdwa v60, v34, v19 dst_sel:DWORD dst_unused:UNUSED_PAD src0_sel:DWORD src1_sel:WORD_1
	v_fma_f16 v60, v127, v19, v60
	v_mul_f16_sdwa v127, v127, v19 dst_sel:DWORD dst_unused:UNUSED_PAD src0_sel:DWORD src1_sel:WORD_1
	v_fma_f16 v34, v34, v19, -v127
	v_fma_f16 v127, v43, 2.0, -v121
	v_sub_f16_e32 v43, v47, v126
	v_fma_f16 v126, v47, 2.0, -v43
	v_sub_f16_e32 v34, v119, v34
	v_sub_f16_e32 v47, v49, v60
	v_fma_f16 v60, v119, 2.0, -v34
	v_fma_f16 v119, v49, 2.0, -v47
	v_sub_f16_e32 v30, v121, v124
	v_sub_f16_e32 v47, v44, v47
	v_add_f16_e32 v32, v120, v43
	v_fma_f16 v43, v121, 2.0, -v30
	v_add_f16_e32 v49, v122, v34
	v_fma_f16 v44, v44, 2.0, -v47
	v_fma_f16 v120, v120, 2.0, -v32
	;; [unrolled: 1-line block ×3, first 2 shown]
	v_fma_f16 v34, v44, s8, v43
	v_fma_f16 v34, v121, s8, v34
	;; [unrolled: 1-line block ×4, first 2 shown]
	v_fma_f16 v121, v45, 2.0, -v22
	v_fma_f16 v45, v43, 2.0, -v34
	;; [unrolled: 1-line block ×3, first 2 shown]
	v_fma_f16 v43, v45, s13, v121
	v_fma_f16 v43, v120, s12, v43
	;; [unrolled: 1-line block ×4, first 2 shown]
	v_sub_f16_e32 v120, v82, v116
	v_sub_f16_e32 v122, v2, v4
	;; [unrolled: 1-line block ×6, first 2 shown]
	v_fma_f16 v4, v82, 2.0, -v120
	v_fma_f16 v2, v2, 2.0, -v122
	;; [unrolled: 1-line block ×6, first 2 shown]
	v_sub_f16_e32 v81, v13, v4
	v_sub_f16_e32 v82, v0, v2
	;; [unrolled: 1-line block ×4, first 2 shown]
	v_fma_f16 v2, v13, 2.0, -v81
	v_fma_f16 v4, v0, 2.0, -v82
	;; [unrolled: 1-line block ×4, first 2 shown]
	v_sub_f16_e32 v0, v2, v0
	v_sub_f16_e32 v13, v4, v1
	v_fma_f16 v1, v2, 2.0, -v0
	v_fma_f16 v2, v4, 2.0, -v13
	v_pack_b32_f16 v1, v1, v2
	v_fma_f16 v2, v121, 2.0, -v43
	v_fma_f16 v4, v118, 2.0, -v45
	v_and_or_b32 v116, v50, s15, v42
	v_pack_b32_f16 v2, v2, v4
	v_lshlrev_b32_e32 v116, 2, v116
	s_barrier
	ds_write2_b32 v116, v1, v2 offset1:8
	v_fma_f16 v2, v28, s9, v20
	v_fma_f16 v1, v26, s9, v15
	;; [unrolled: 1-line block ×7, first 2 shown]
	v_sub_f16_e32 v49, v48, v122
	v_fma_f16 v47, v47, s9, v28
	v_fma_f16 v28, v48, 2.0, -v49
	v_sub_f16_e32 v48, v124, v119
	v_add_f16_e32 v118, v3, v120
	v_add_f16_e32 v60, v125, v60
	v_fma_f16 v119, v124, 2.0, -v48
	v_fma_f16 v3, v3, 2.0, -v118
	;; [unrolled: 1-line block ×3, first 2 shown]
	v_fma_f16 v121, v119, s8, v28
	v_fma_f16 v121, v120, s8, v121
	;; [unrolled: 1-line block ×3, first 2 shown]
	v_fma_f16 v15, v15, 2.0, -v1
	v_fma_f16 v30, v30, 2.0, -v26
	v_fma_f16 v119, v119, s9, v120
	v_fma_f16 v20, v20, 2.0, -v2
	v_fma_f16 v32, v32, 2.0, -v47
	v_fma_f16 v120, v30, s12, v15
	v_fma_f16 v120, v32, s13, v120
	;; [unrolled: 1-line block ×3, first 2 shown]
	s_movk_i32 s15, 0x3b64
	v_fma_f16 v122, v30, s15, v32
	v_fma_f16 v28, v28, 2.0, -v121
	v_fma_f16 v3, v3, 2.0, -v119
	v_fma_f16 v15, v15, 2.0, -v120
	v_fma_f16 v20, v20, 2.0, -v122
	v_pack_b32_f16 v3, v28, v3
	v_pack_b32_f16 v15, v15, v20
	ds_write2_b32 v116, v3, v15 offset0:16 offset1:24
	v_fma_f16 v3, v34, s14, v22
	v_fma_f16 v15, v44, s14, v24
	;; [unrolled: 1-line block ×4, first 2 shown]
	v_sub_f16_e32 v20, v81, v84
	v_add_f16_e32 v44, v82, v123
	v_fma_f16 v28, v81, 2.0, -v20
	v_fma_f16 v30, v82, 2.0, -v44
	;; [unrolled: 1-line block ×4, first 2 shown]
	v_pack_b32_f16 v28, v28, v30
	v_pack_b32_f16 v22, v22, v24
	ds_write2_b32 v116, v28, v22 offset0:32 offset1:40
	v_fma_f16 v22, v48, s9, v49
	v_fma_f16 v32, v60, s8, v22
	;; [unrolled: 1-line block ×8, first 2 shown]
	v_fma_f16 v22, v49, 2.0, -v32
	v_fma_f16 v24, v118, 2.0, -v34
	;; [unrolled: 1-line block ×4, first 2 shown]
	v_pack_b32_f16 v22, v22, v24
	v_pack_b32_f16 v1, v1, v2
	ds_write2_b32 v116, v22, v1 offset0:48 offset1:56
	v_pack_b32_f16 v0, v0, v13
	v_pack_b32_f16 v1, v43, v45
	ds_write2_b32 v116, v0, v1 offset0:64 offset1:72
	;; [unrolled: 3-line block ×4, first 2 shown]
	v_lshrrev_b32_e32 v0, 16, v33
	v_mul_f16_sdwa v2, v33, v9 dst_sel:DWORD dst_unused:UNUSED_PAD src0_sel:DWORD src1_sel:WORD_1
	v_mul_f16_sdwa v1, v0, v9 dst_sel:DWORD dst_unused:UNUSED_PAD src0_sel:DWORD src1_sel:WORD_1
	v_fma_f16 v0, v0, v9, v2
	v_lshrrev_b32_e32 v2, 16, v31
	v_mul_f16_sdwa v13, v31, v10 dst_sel:DWORD dst_unused:UNUSED_PAD src0_sel:DWORD src1_sel:WORD_1
	v_mul_f16_sdwa v3, v2, v10 dst_sel:DWORD dst_unused:UNUSED_PAD src0_sel:DWORD src1_sel:WORD_1
	v_fma_f16 v2, v2, v10, v13
	;; [unrolled: 4-line block ×3, first 2 shown]
	v_lshrrev_b32_e32 v20, 16, v29
	v_mul_f16_sdwa v22, v20, v12 dst_sel:DWORD dst_unused:UNUSED_PAD src0_sel:DWORD src1_sel:WORD_1
	v_mul_f16_sdwa v24, v29, v12 dst_sel:DWORD dst_unused:UNUSED_PAD src0_sel:DWORD src1_sel:WORD_1
	v_fma_f16 v22, v29, v12, -v22
	v_fma_f16 v20, v20, v12, v24
	v_lshrrev_b32_e32 v24, 16, v40
	v_mul_f16_sdwa v29, v40, v5 dst_sel:DWORD dst_unused:UNUSED_PAD src0_sel:DWORD src1_sel:WORD_1
	v_mul_f16_sdwa v26, v24, v5 dst_sel:DWORD dst_unused:UNUSED_PAD src0_sel:DWORD src1_sel:WORD_1
	v_fma_f16 v24, v24, v5, v29
	v_lshrrev_b32_e32 v29, 16, v27
	v_fma_f16 v3, v31, v10, -v3
	v_mul_f16_sdwa v31, v29, v6 dst_sel:DWORD dst_unused:UNUSED_PAD src0_sel:DWORD src1_sel:WORD_1
	v_fma_f16 v31, v27, v6, -v31
	v_mul_f16_sdwa v27, v27, v6 dst_sel:DWORD dst_unused:UNUSED_PAD src0_sel:DWORD src1_sel:WORD_1
	v_fma_f16 v27, v29, v6, v27
	v_lshrrev_b32_e32 v29, 16, v39
	v_fma_f16 v1, v33, v9, -v1
	v_mul_f16_sdwa v33, v29, v7 dst_sel:DWORD dst_unused:UNUSED_PAD src0_sel:DWORD src1_sel:WORD_1
	v_fma_f16 v26, v40, v5, -v26
	v_fma_f16 v40, v39, v7, -v33
	v_mul_f16_sdwa v33, v39, v7 dst_sel:DWORD dst_unused:UNUSED_PAD src0_sel:DWORD src1_sel:WORD_1
	v_fma_f16 v39, v29, v7, v33
	v_lshrrev_b32_e32 v29, 16, v25
	v_mul_f16_sdwa v33, v29, v8 dst_sel:DWORD dst_unused:UNUSED_PAD src0_sel:DWORD src1_sel:WORD_1
	v_fma_f16 v33, v25, v8, -v33
	v_mul_f16_sdwa v25, v25, v8 dst_sel:DWORD dst_unused:UNUSED_PAD src0_sel:DWORD src1_sel:WORD_1
	v_fma_f16 v25, v29, v8, v25
	v_lshrrev_b32_e32 v29, 16, v38
	v_fma_f16 v15, v41, v11, -v15
	v_mul_f16_sdwa v41, v29, v63 dst_sel:DWORD dst_unused:UNUSED_PAD src0_sel:DWORD src1_sel:WORD_1
	v_fma_f16 v41, v38, v63, -v41
	v_mul_f16_sdwa v38, v38, v63 dst_sel:DWORD dst_unused:UNUSED_PAD src0_sel:DWORD src1_sel:WORD_1
	v_fma_f16 v38, v29, v63, v38
	v_lshrrev_b32_e32 v29, 16, v23
	v_mul_f16_sdwa v43, v29, v64 dst_sel:DWORD dst_unused:UNUSED_PAD src0_sel:DWORD src1_sel:WORD_1
	v_fma_f16 v43, v23, v64, -v43
	v_mul_f16_sdwa v23, v23, v64 dst_sel:DWORD dst_unused:UNUSED_PAD src0_sel:DWORD src1_sel:WORD_1
	v_fma_f16 v23, v29, v64, v23
	v_lshrrev_b32_e32 v29, 16, v37
	;; [unrolled: 5-line block ×6, first 2 shown]
	v_mul_f16_sdwa v49, v29, v19 dst_sel:DWORD dst_unused:UNUSED_PAD src0_sel:DWORD src1_sel:WORD_1
	v_fma_f16 v49, v35, v19, -v49
	v_mul_f16_sdwa v35, v35, v19 dst_sel:DWORD dst_unused:UNUSED_PAD src0_sel:DWORD src1_sel:WORD_1
	v_fma_f16 v60, v29, v19, v35
	v_sub_f16_e32 v29, v14, v33
	v_lshrrev_b32_e32 v33, 16, v14
	v_fma_f16 v81, v14, 2.0, -v29
	v_sub_f16_e32 v14, v33, v25
	v_sub_f16_e32 v21, v20, v21
	;; [unrolled: 1-line block ×4, first 2 shown]
	v_fma_f16 v25, v33, 2.0, -v14
	v_sub_f16_e32 v33, v22, v45
	v_fma_f16 v20, v20, 2.0, -v21
	v_sub_f16_e32 v23, v2, v23
	v_sub_f16_e32 v43, v31, v48
	v_fma_f16 v27, v27, 2.0, -v16
	v_sub_f16_e32 v21, v29, v21
	v_sub_f16_e32 v16, v35, v16
	v_fma_f16 v45, v31, 2.0, -v43
	v_add_f16_e32 v48, v14, v33
	v_fma_f16 v82, v29, 2.0, -v21
	v_add_f16_e32 v43, v23, v43
	v_fma_f16 v31, v35, 2.0, -v16
	v_fma_f16 v2, v2, 2.0, -v23
	;; [unrolled: 1-line block ×4, first 2 shown]
	v_fma_f16 v29, v31, s8, v82
	v_fma_f16 v29, v23, s8, v29
	;; [unrolled: 1-line block ×3, first 2 shown]
	v_fma_f16 v22, v22, 2.0, -v33
	v_fma_f16 v33, v31, s9, v23
	v_fma_f16 v23, v16, s9, v21
	;; [unrolled: 1-line block ×4, first 2 shown]
	v_fma_f16 v3, v3, 2.0, -v35
	v_fma_f16 v35, v16, s9, v23
	v_sub_f16_e32 v23, v0, v38
	v_sub_f16_e32 v16, v1, v41
	v_fma_f16 v38, v0, 2.0, -v23
	v_sub_f16_e32 v0, v26, v47
	v_sub_f16_e32 v36, v24, v36
	;; [unrolled: 1-line block ×5, first 2 shown]
	v_fma_f16 v26, v26, 2.0, -v0
	v_fma_f16 v43, v13, 2.0, -v37
	v_sub_f16_e32 v13, v40, v49
	v_sub_f16_e32 v47, v16, v36
	v_add_f16_e32 v49, v23, v0
	v_sub_f16_e32 v0, v41, v44
	v_fma_f16 v1, v1, 2.0, -v16
	v_fma_f16 v24, v24, 2.0, -v36
	;; [unrolled: 1-line block ×4, first 2 shown]
	v_add_f16_e32 v13, v37, v13
	v_fma_f16 v36, v41, 2.0, -v0
	v_fma_f16 v15, v15, 2.0, -v41
	;; [unrolled: 1-line block ×4, first 2 shown]
	v_fma_f16 v41, v36, s8, v16
	v_fma_f16 v41, v37, s8, v41
	;; [unrolled: 1-line block ×5, first 2 shown]
	v_fma_f16 v39, v39, 2.0, -v44
	v_fma_f16 v44, v13, s8, v36
	v_fma_f16 v13, v13, s9, v49
	;; [unrolled: 1-line block ×3, first 2 shown]
	v_fma_f16 v0, v82, 2.0, -v29
	v_fma_f16 v36, v14, 2.0, -v33
	;; [unrolled: 1-line block ×4, first 2 shown]
	v_fma_f16 v13, v14, s13, v0
	v_fma_f16 v13, v16, s12, v13
	;; [unrolled: 1-line block ×3, first 2 shown]
	v_sub_f16_e32 v20, v25, v20
	v_fma_f16 v14, v14, s14, v16
	v_sub_f16_e32 v16, v81, v22
	v_fma_f16 v82, v25, 2.0, -v20
	v_sub_f16_e32 v23, v2, v27
	v_sub_f16_e32 v25, v1, v26
	;; [unrolled: 1-line block ×6, first 2 shown]
	v_fma_f16 v40, v43, 2.0, -v27
	v_sub_f16_e32 v84, v16, v23
	v_sub_f16_e32 v27, v25, v27
	v_fma_f16 v81, v81, 2.0, -v16
	v_fma_f16 v39, v15, 2.0, -v26
	v_add_f16_e32 v118, v20, v22
	v_fma_f16 v43, v16, 2.0, -v84
	v_add_f16_e32 v26, v24, v26
	v_fma_f16 v16, v25, 2.0, -v27
	v_fma_f16 v45, v20, 2.0, -v118
	;; [unrolled: 1-line block ×3, first 2 shown]
	v_fma_f16 v15, v16, s8, v43
	v_fma_f16 v15, v20, s8, v15
	;; [unrolled: 1-line block ×3, first 2 shown]
	v_fma_f16 v119, v21, 2.0, -v31
	v_fma_f16 v21, v47, 2.0, -v44
	;; [unrolled: 1-line block ×4, first 2 shown]
	v_fma_f16 v16, v16, s9, v20
	v_fma_f16 v48, v48, 2.0, -v35
	v_fma_f16 v22, v49, 2.0, -v60
	v_fma_f16 v20, v21, s12, v119
	v_fma_f16 v25, v26, s9, v118
	v_fma_f16 v38, v38, 2.0, -v24
	v_fma_f16 v20, v22, s13, v20
	v_fma_f16 v22, v22, s12, v48
	;; [unrolled: 1-line block ×10, first 2 shown]
	v_sub_f16_e32 v3, v81, v3
	v_sub_f16_e32 v44, v1, v39
	v_fma_f16 v2, v2, 2.0, -v23
	v_fma_f16 v21, v37, s13, v21
	v_fma_f16 v23, v37, s14, v33
	v_fma_f16 v37, v81, 2.0, -v3
	v_fma_f16 v1, v1, 2.0, -v44
	v_pack_b32_f16 v49, v32, v34
	v_sub_f16_e32 v2, v82, v2
	v_sub_f16_e32 v32, v37, v1
	;; [unrolled: 1-line block ×3, first 2 shown]
	v_fma_f16 v1, v37, 2.0, -v32
	v_add_f16_e32 v37, v2, v44
	v_fma_f16 v23, v41, s15, v23
	v_fma_f16 v41, v82, 2.0, -v2
	v_fma_f16 v34, v38, 2.0, -v47
	;; [unrolled: 1-line block ×3, first 2 shown]
	v_pack_b32_f16 v2, v28, v30
	v_sub_f16_e32 v34, v41, v34
	ds_write2_b32 v116, v49, v2 offset0:112 offset1:120
	v_lshlrev_b32_e32 v2, 4, v46
	v_fma_f16 v26, v60, s12, v26
	v_fma_f16 v60, v41, 2.0, -v34
	v_fma_f16 v81, v0, 2.0, -v13
	;; [unrolled: 1-line block ×3, first 2 shown]
	v_and_or_b32 v2, v2, s16, v42
	v_fma_f16 v38, v43, 2.0, -v15
	v_fma_f16 v39, v45, 2.0, -v16
	;; [unrolled: 1-line block ×4, first 2 shown]
	v_sub_f16_e32 v36, v3, v47
	v_lshlrev_b32_e32 v124, 2, v2
	v_pack_b32_f16 v1, v1, v60
	v_pack_b32_f16 v2, v81, v82
	v_fma_f16 v43, v3, 2.0, -v36
	v_fma_f16 v29, v29, 2.0, -v21
	;; [unrolled: 1-line block ×3, first 2 shown]
	ds_write2_b32 v124, v1, v2 offset1:8
	v_pack_b32_f16 v1, v38, v39
	v_pack_b32_f16 v2, v40, v41
	v_fma_f16 v33, v84, 2.0, -v24
	v_fma_f16 v47, v118, 2.0, -v25
	;; [unrolled: 1-line block ×4, first 2 shown]
	ds_write2_b32 v124, v1, v2 offset0:16 offset1:24
	v_pack_b32_f16 v1, v43, v44
	v_pack_b32_f16 v2, v29, v45
	ds_write2_b32 v124, v1, v2 offset0:32 offset1:40
	v_pack_b32_f16 v1, v33, v47
	v_pack_b32_f16 v0, v31, v0
	v_and_b32_e32 v47, 0x7f, v100
	ds_write2_b32 v124, v1, v0 offset0:48 offset1:56
	v_pack_b32_f16 v0, v32, v34
	v_pack_b32_f16 v1, v13, v14
	v_mad_u64_u32 v[13:14], s[16:17], v47, 12, s[10:11]
	ds_write2_b32 v124, v0, v1 offset0:64 offset1:72
	v_pack_b32_f16 v0, v15, v16
	v_pack_b32_f16 v1, v20, v22
	ds_write2_b32 v124, v0, v1 offset0:80 offset1:88
	v_pack_b32_f16 v0, v36, v37
	v_pack_b32_f16 v1, v21, v23
	;; [unrolled: 3-line block ×3, first 2 shown]
	ds_write2_b32 v124, v0, v1 offset0:112 offset1:120
	s_waitcnt lgkmcnt(0)
	s_barrier
	global_load_dwordx3 v[20:22], v[13:14], off offset:480
	ds_read2st64_b32 v[34:35], v83 offset1:8
	ds_read2st64_b32 v[42:43], v83 offset0:64 offset1:72
	ds_read2st64_b32 v[40:41], v83 offset0:128 offset1:136
	;; [unrolled: 1-line block ×3, first 2 shown]
	s_movk_i32 s16, 0x600
	s_waitcnt lgkmcnt(3)
	v_lshrrev_b32_e32 v0, 16, v34
	s_waitcnt lgkmcnt(2)
	v_lshrrev_b32_e32 v1, 16, v42
	;; [unrolled: 2-line block ×4, first 2 shown]
	v_and_or_b32 v49, v83, s16, v47
	v_lshlrev_b32_e32 v4, 2, v49
	ds_read2st64_b32 v[25:26], v83 offset0:16 offset1:24
	ds_read2st64_b32 v[31:32], v83 offset0:80 offset1:88
	;; [unrolled: 1-line block ×8, first 2 shown]
	s_movk_i32 s16, 0xe00
	s_waitcnt vmcnt(0)
	v_mul_f16_sdwa v36, v42, v20 dst_sel:DWORD dst_unused:UNUSED_PAD src0_sel:DWORD src1_sel:WORD_1
	v_mul_f16_sdwa v39, v40, v21 dst_sel:DWORD dst_unused:UNUSED_PAD src0_sel:DWORD src1_sel:WORD_1
	;; [unrolled: 1-line block ×3, first 2 shown]
	v_fma_f16 v1, v1, v20, v36
	v_mul_f16_sdwa v36, v2, v21 dst_sel:DWORD dst_unused:UNUSED_PAD src0_sel:DWORD src1_sel:WORD_1
	v_fma_f16 v2, v2, v21, v39
	v_mul_f16_sdwa v39, v3, v22 dst_sel:DWORD dst_unused:UNUSED_PAD src0_sel:DWORD src1_sel:WORD_1
	v_fma_f16 v39, v37, v22, -v39
	v_mul_f16_sdwa v37, v37, v22 dst_sel:DWORD dst_unused:UNUSED_PAD src0_sel:DWORD src1_sel:WORD_1
	v_fma_f16 v33, v42, v20, -v33
	v_fma_f16 v36, v40, v21, -v36
	v_fma_f16 v3, v3, v22, v37
	v_sub_f16_e32 v36, v34, v36
	v_sub_f16_e32 v2, v0, v2
	;; [unrolled: 1-line block ×4, first 2 shown]
	v_fma_f16 v34, v34, 2.0, -v36
	v_fma_f16 v0, v0, 2.0, -v2
	v_fma_f16 v33, v33, 2.0, -v37
	v_fma_f16 v1, v1, 2.0, -v3
	v_sub_f16_e32 v42, v34, v33
	v_sub_f16_e32 v1, v0, v1
	v_fma_f16 v33, v34, 2.0, -v42
	v_fma_f16 v0, v0, 2.0, -v1
	v_sub_f16_e32 v3, v36, v3
	v_add_f16_e32 v48, v2, v37
	v_pack_b32_f16 v0, v33, v0
	v_fma_f16 v33, v36, 2.0, -v3
	v_fma_f16 v2, v2, 2.0, -v48
	v_pack_b32_f16 v2, v33, v2
	ds_read2st64_b32 v[33:34], v83 offset0:48 offset1:56
	ds_read2st64_b32 v[44:45], v83 offset0:112 offset1:120
	;; [unrolled: 1-line block ×4, first 2 shown]
	s_waitcnt lgkmcnt(0)
	s_barrier
	ds_write2st64_b32 v4, v0, v2 offset1:2
	v_pack_b32_f16 v0, v42, v1
	v_pack_b32_f16 v1, v3, v48
	ds_write2st64_b32 v4, v0, v1 offset0:4 offset1:6
	v_lshrrev_b32_e32 v0, 16, v43
	v_mul_f16_sdwa v2, v43, v20 dst_sel:DWORD dst_unused:UNUSED_PAD src0_sel:DWORD src1_sel:WORD_1
	v_mul_f16_sdwa v1, v0, v20 dst_sel:DWORD dst_unused:UNUSED_PAD src0_sel:DWORD src1_sel:WORD_1
	v_fma_f16 v0, v0, v20, v2
	v_lshrrev_b32_e32 v2, 16, v41
	v_mul_f16_sdwa v3, v2, v21 dst_sel:DWORD dst_unused:UNUSED_PAD src0_sel:DWORD src1_sel:WORD_1
	v_fma_f16 v3, v41, v21, -v3
	v_mul_f16_sdwa v41, v41, v21 dst_sel:DWORD dst_unused:UNUSED_PAD src0_sel:DWORD src1_sel:WORD_1
	v_fma_f16 v2, v2, v21, v41
	v_lshrrev_b32_e32 v41, 16, v38
	v_mul_f16_sdwa v42, v41, v22 dst_sel:DWORD dst_unused:UNUSED_PAD src0_sel:DWORD src1_sel:WORD_1
	v_fma_f16 v42, v38, v22, -v42
	v_mul_f16_sdwa v38, v38, v22 dst_sel:DWORD dst_unused:UNUSED_PAD src0_sel:DWORD src1_sel:WORD_1
	v_fma_f16 v1, v43, v20, -v1
	v_fma_f16 v38, v41, v22, v38
	v_lshrrev_b32_e32 v41, 16, v35
	v_sub_f16_e32 v3, v35, v3
	v_sub_f16_e32 v2, v41, v2
	;; [unrolled: 1-line block ×4, first 2 shown]
	v_fma_f16 v35, v35, 2.0, -v3
	v_fma_f16 v41, v41, 2.0, -v2
	;; [unrolled: 1-line block ×4, first 2 shown]
	v_sub_f16_e32 v1, v35, v1
	v_sub_f16_e32 v0, v41, v0
	v_fma_f16 v35, v35, 2.0, -v1
	v_fma_f16 v41, v41, 2.0, -v0
	v_pack_b32_f16 v35, v35, v41
	v_sub_f16_e32 v38, v3, v38
	v_add_f16_e32 v41, v2, v42
	v_fma_f16 v3, v3, 2.0, -v38
	v_fma_f16 v2, v2, 2.0, -v41
	v_pack_b32_f16 v2, v3, v2
	v_lshlrev_b32_e32 v3, 2, v46
	v_and_or_b32 v3, v3, s16, v47
	v_lshlrev_b32_e32 v3, 2, v3
	buffer_store_dword v4, off, s[20:23], 0 offset:92 ; 4-byte Folded Spill
	ds_write2st64_b32 v3, v35, v2 offset1:2
	v_mov_b32_e32 v4, v3
	v_lshrrev_b32_e32 v3, 16, v29
	v_pack_b32_f16 v0, v1, v0
	v_pack_b32_f16 v35, v38, v41
	ds_write2st64_b32 v4, v0, v35 offset0:4 offset1:6
	v_mul_f16_sdwa v0, v3, v21 dst_sel:DWORD dst_unused:UNUSED_PAD src0_sel:DWORD src1_sel:WORD_1
	v_fma_f16 v0, v29, v21, -v0
	v_mul_f16_sdwa v29, v29, v21 dst_sel:DWORD dst_unused:UNUSED_PAD src0_sel:DWORD src1_sel:WORD_1
	v_lshrrev_b32_e32 v2, 16, v31
	v_lshrrev_b32_e32 v1, 16, v27
	v_mul_f16_sdwa v38, v31, v20 dst_sel:DWORD dst_unused:UNUSED_PAD src0_sel:DWORD src1_sel:WORD_1
	v_fma_f16 v3, v3, v21, v29
	v_mul_f16_sdwa v29, v27, v22 dst_sel:DWORD dst_unused:UNUSED_PAD src0_sel:DWORD src1_sel:WORD_1
	v_fma_f16 v38, v2, v20, v38
	;; [unrolled: 2-line block ×3, first 2 shown]
	v_mul_f16_sdwa v1, v1, v22 dst_sel:DWORD dst_unused:UNUSED_PAD src0_sel:DWORD src1_sel:WORD_1
	v_fma_f16 v2, v31, v20, -v2
	v_fma_f16 v1, v27, v22, -v1
	v_lshrrev_b32_e32 v27, 16, v25
	v_sub_f16_e32 v0, v25, v0
	v_sub_f16_e32 v3, v27, v3
	;; [unrolled: 1-line block ×4, first 2 shown]
	v_fma_f16 v27, v27, 2.0, -v3
	v_fma_f16 v2, v2, 2.0, -v1
	;; [unrolled: 1-line block ×4, first 2 shown]
	v_sub_f16_e32 v2, v25, v2
	v_sub_f16_e32 v31, v27, v31
	v_fma_f16 v25, v25, 2.0, -v2
	v_fma_f16 v27, v27, 2.0, -v31
	v_pack_b32_f16 v25, v25, v27
	v_sub_f16_e32 v27, v0, v29
	v_add_f16_e32 v1, v3, v1
	v_fma_f16 v0, v0, 2.0, -v27
	v_fma_f16 v3, v3, 2.0, -v1
	s_movk_i32 s16, 0x1600
	v_pack_b32_f16 v0, v0, v3
	v_and_or_b32 v3, v54, s16, v47
	buffer_store_dword v4, off, s[20:23], 0 offset:96 ; 4-byte Folded Spill
	v_lshlrev_b32_e32 v4, 2, v3
	ds_write2st64_b32 v4, v25, v0 offset1:2
	v_pack_b32_f16 v2, v2, v31
	v_lshrrev_b32_e32 v3, 16, v32
	v_pack_b32_f16 v1, v27, v1
	v_lshrrev_b32_e32 v25, 16, v30
	v_mul_f16_sdwa v27, v32, v20 dst_sel:DWORD dst_unused:UNUSED_PAD src0_sel:DWORD src1_sel:WORD_1
	ds_write2st64_b32 v4, v2, v1 offset0:4 offset1:6
	v_mul_f16_sdwa v2, v3, v20 dst_sel:DWORD dst_unused:UNUSED_PAD src0_sel:DWORD src1_sel:WORD_1
	v_fma_f16 v3, v3, v20, v27
	v_mul_f16_sdwa v27, v25, v21 dst_sel:DWORD dst_unused:UNUSED_PAD src0_sel:DWORD src1_sel:WORD_1
	v_lshrrev_b32_e32 v1, 16, v28
	v_fma_f16 v27, v30, v21, -v27
	v_mul_f16_sdwa v30, v30, v21 dst_sel:DWORD dst_unused:UNUSED_PAD src0_sel:DWORD src1_sel:WORD_1
	v_fma_f16 v25, v25, v21, v30
	v_mul_f16_sdwa v30, v1, v22 dst_sel:DWORD dst_unused:UNUSED_PAD src0_sel:DWORD src1_sel:WORD_1
	v_fma_f16 v30, v28, v22, -v30
	v_mul_f16_sdwa v28, v28, v22 dst_sel:DWORD dst_unused:UNUSED_PAD src0_sel:DWORD src1_sel:WORD_1
	v_lshrrev_b32_e32 v0, 16, v26
	v_fma_f16 v2, v32, v20, -v2
	v_fma_f16 v1, v1, v22, v28
	v_sub_f16_e32 v27, v26, v27
	v_sub_f16_e32 v25, v0, v25
	;; [unrolled: 1-line block ×4, first 2 shown]
	v_fma_f16 v2, v2, 2.0, -v30
	v_fma_f16 v3, v3, 2.0, -v1
	v_sub_f16_e32 v1, v27, v1
	v_add_f16_e32 v30, v25, v30
	v_fma_f16 v26, v26, 2.0, -v27
	v_fma_f16 v0, v0, 2.0, -v25
	v_fma_f16 v27, v27, 2.0, -v1
	v_fma_f16 v25, v25, 2.0, -v30
	s_movk_i32 s16, 0x1e00
	v_sub_f16_e32 v2, v26, v2
	v_sub_f16_e32 v3, v0, v3
	v_pack_b32_f16 v25, v27, v25
	v_and_or_b32 v27, v56, s16, v47
	buffer_store_dword v4, off, s[20:23], 0 offset:84 ; 4-byte Folded Spill
	v_fma_f16 v26, v26, 2.0, -v2
	v_lshlrev_b32_e32 v4, 2, v27
	v_pack_b32_f16 v2, v2, v3
	v_pack_b32_f16 v1, v1, v30
	v_lshrrev_b32_e32 v31, 16, v23
	v_lshrrev_b32_e32 v32, 16, v15
	ds_write2st64_b32 v4, v2, v1 offset0:4 offset1:6
	v_mul_f16_sdwa v2, v23, v20 dst_sel:DWORD dst_unused:UNUSED_PAD src0_sel:DWORD src1_sel:WORD_1
	v_mul_f16_sdwa v30, v15, v21 dst_sel:DWORD dst_unused:UNUSED_PAD src0_sel:DWORD src1_sel:WORD_1
	v_lshrrev_b32_e32 v28, 16, v81
	v_mul_f16_sdwa v1, v31, v20 dst_sel:DWORD dst_unused:UNUSED_PAD src0_sel:DWORD src1_sel:WORD_1
	v_fma_f16 v2, v31, v20, v2
	v_fma_f16 v30, v32, v21, v30
	v_mul_f16_sdwa v31, v32, v21 dst_sel:DWORD dst_unused:UNUSED_PAD src0_sel:DWORD src1_sel:WORD_1
	v_mul_f16_sdwa v32, v81, v22 dst_sel:DWORD dst_unused:UNUSED_PAD src0_sel:DWORD src1_sel:WORD_1
	v_fma_f16 v32, v28, v22, v32
	v_mul_f16_sdwa v28, v28, v22 dst_sel:DWORD dst_unused:UNUSED_PAD src0_sel:DWORD src1_sel:WORD_1
	v_lshrrev_b32_e32 v29, 16, v13
	v_lshrrev_b32_e32 v35, 16, v24
	v_fma_f16 v0, v0, 2.0, -v3
	v_fma_f16 v1, v23, v20, -v1
	v_fma_f16 v15, v15, v21, -v31
	v_fma_f16 v28, v81, v22, -v28
	v_pack_b32_f16 v0, v26, v0
	v_lshrrev_b32_e32 v26, 16, v16
	v_mul_f16_sdwa v23, v35, v20 dst_sel:DWORD dst_unused:UNUSED_PAD src0_sel:DWORD src1_sel:WORD_1
	v_sub_f16_e32 v15, v13, v15
	v_sub_f16_e32 v30, v29, v30
	;; [unrolled: 1-line block ×4, first 2 shown]
	v_fma_f16 v23, v24, v20, -v23
	v_mul_f16_sdwa v24, v24, v20 dst_sel:DWORD dst_unused:UNUSED_PAD src0_sel:DWORD src1_sel:WORD_1
	v_mul_f16_sdwa v31, v26, v21 dst_sel:DWORD dst_unused:UNUSED_PAD src0_sel:DWORD src1_sel:WORD_1
	v_fma_f16 v13, v13, 2.0, -v15
	v_fma_f16 v29, v29, 2.0, -v30
	v_fma_f16 v1, v1, 2.0, -v28
	v_fma_f16 v2, v2, 2.0, -v32
	v_sub_f16_e32 v32, v15, v32
	v_add_f16_e32 v28, v30, v28
	ds_write2st64_b32 v4, v0, v25 offset1:2
	v_lshrrev_b32_e32 v0, 16, v82
	v_fma_f16 v24, v35, v20, v24
	v_fma_f16 v31, v16, v21, -v31
	v_mul_f16_sdwa v16, v16, v21 dst_sel:DWORD dst_unused:UNUSED_PAD src0_sel:DWORD src1_sel:WORD_1
	v_mul_f16_sdwa v35, v82, v22 dst_sel:DWORD dst_unused:UNUSED_PAD src0_sel:DWORD src1_sel:WORD_1
	v_sub_f16_e32 v1, v13, v1
	v_sub_f16_e32 v2, v29, v2
	v_fma_f16 v15, v15, 2.0, -v32
	v_fma_f16 v30, v30, 2.0, -v28
	s_movk_i32 s16, 0x2600
	v_lshrrev_b32_e32 v3, 16, v39
	v_fma_f16 v16, v26, v21, v16
	v_mul_f16_sdwa v26, v0, v22 dst_sel:DWORD dst_unused:UNUSED_PAD src0_sel:DWORD src1_sel:WORD_1
	v_fma_f16 v0, v0, v22, v35
	v_fma_f16 v13, v13, 2.0, -v1
	v_fma_f16 v29, v29, 2.0, -v2
	v_pack_b32_f16 v15, v15, v30
	v_and_or_b32 v30, v53, s16, v47
	v_mul_f16_sdwa v35, v39, v21 dst_sel:DWORD dst_unused:UNUSED_PAD src0_sel:DWORD src1_sel:WORD_1
	buffer_store_dword v4, off, s[20:23], 0 offset:80 ; 4-byte Folded Spill
	v_pack_b32_f16 v13, v13, v29
	v_lshlrev_b32_e32 v4, 2, v30
	v_fma_f16 v35, v3, v21, v35
	v_mul_f16_sdwa v3, v3, v21 dst_sel:DWORD dst_unused:UNUSED_PAD src0_sel:DWORD src1_sel:WORD_1
	v_lshrrev_b32_e32 v25, 16, v44
	v_lshrrev_b32_e32 v38, 16, v45
	;; [unrolled: 1-line block ×3, first 2 shown]
	ds_write2st64_b32 v4, v13, v15 offset1:2
	v_mul_f16_sdwa v15, v44, v20 dst_sel:DWORD dst_unused:UNUSED_PAD src0_sel:DWORD src1_sel:WORD_1
	v_mul_f16_sdwa v30, v45, v20 dst_sel:DWORD dst_unused:UNUSED_PAD src0_sel:DWORD src1_sel:WORD_1
	v_fma_f16 v3, v39, v21, -v3
	v_mul_f16_sdwa v39, v40, v21 dst_sel:DWORD dst_unused:UNUSED_PAD src0_sel:DWORD src1_sel:WORD_1
	v_lshrrev_b32_e32 v27, 16, v36
	v_mul_f16_sdwa v13, v25, v20 dst_sel:DWORD dst_unused:UNUSED_PAD src0_sel:DWORD src1_sel:WORD_1
	v_fma_f16 v15, v25, v20, v15
	v_mul_f16_sdwa v25, v38, v20 dst_sel:DWORD dst_unused:UNUSED_PAD src0_sel:DWORD src1_sel:WORD_1
	v_fma_f16 v30, v38, v20, v30
	;; [unrolled: 2-line block ×3, first 2 shown]
	v_mul_f16_sdwa v39, v36, v22 dst_sel:DWORD dst_unused:UNUSED_PAD src0_sel:DWORD src1_sel:WORD_1
	v_fma_f16 v38, v40, v21, -v38
	v_lshrrev_b32_e32 v40, 16, v37
	v_fma_f16 v39, v27, v22, v39
	v_mul_f16_sdwa v27, v27, v22 dst_sel:DWORD dst_unused:UNUSED_PAD src0_sel:DWORD src1_sel:WORD_1
	v_fma_f16 v27, v36, v22, -v27
	v_mul_f16_sdwa v36, v40, v22 dst_sel:DWORD dst_unused:UNUSED_PAD src0_sel:DWORD src1_sel:WORD_1
	v_fma_f16 v36, v37, v22, -v36
	;; [unrolled: 2-line block ×3, first 2 shown]
	v_fma_f16 v37, v40, v22, v37
	v_lshrrev_b32_e32 v40, 16, v14
	v_sub_f16_e32 v31, v14, v31
	v_pack_b32_f16 v1, v1, v2
	v_sub_f16_e32 v2, v40, v16
	v_sub_f16_e32 v26, v23, v26
	;; [unrolled: 1-line block ×3, first 2 shown]
	v_fma_f16 v14, v14, 2.0, -v31
	v_fma_f16 v16, v40, 2.0, -v2
	;; [unrolled: 1-line block ×4, first 2 shown]
	v_fma_f16 v13, v44, v20, -v13
	v_lshrrev_b32_e32 v41, 16, v33
	v_sub_f16_e32 v23, v14, v23
	v_sub_f16_e32 v24, v16, v24
	;; [unrolled: 1-line block ×3, first 2 shown]
	v_add_f16_e32 v26, v2, v26
	v_pack_b32_f16 v28, v32, v28
	s_movk_i32 s16, 0x2e00
	v_sub_f16_e32 v3, v33, v3
	v_fma_f16 v14, v14, 2.0, -v23
	v_fma_f16 v16, v16, 2.0, -v24
	v_fma_f16 v31, v31, 2.0, -v0
	v_fma_f16 v2, v2, 2.0, -v26
	v_sub_f16_e32 v35, v41, v35
	v_sub_f16_e32 v27, v13, v27
	v_sub_f16_e32 v39, v15, v39
	ds_write2st64_b32 v4, v1, v28 offset0:4 offset1:6
	v_and_or_b32 v1, v72, s16, v47
	v_fma_f16 v33, v33, 2.0, -v3
	v_fma_f16 v40, v41, 2.0, -v35
	v_fma_f16 v13, v13, 2.0, -v27
	v_fma_f16 v15, v15, 2.0, -v39
	v_lshlrev_b32_e32 v126, 2, v1
	v_pack_b32_f16 v1, v14, v16
	v_pack_b32_f16 v2, v31, v2
	v_fma_f16 v25, v45, v20, -v25
	v_lshrrev_b32_e32 v42, 16, v34
	v_sub_f16_e32 v13, v33, v13
	v_sub_f16_e32 v15, v40, v15
	;; [unrolled: 1-line block ×3, first 2 shown]
	v_add_f16_e32 v27, v35, v27
	ds_write2st64_b32 v126, v1, v2 offset1:2
	v_pack_b32_f16 v1, v23, v24
	v_pack_b32_f16 v0, v0, v26
	s_movk_i32 s16, 0x3600
	v_sub_f16_e32 v38, v34, v38
	v_fma_f16 v33, v33, 2.0, -v13
	v_fma_f16 v40, v40, 2.0, -v15
	;; [unrolled: 1-line block ×4, first 2 shown]
	v_sub_f16_e32 v29, v42, v29
	v_sub_f16_e32 v36, v25, v36
	;; [unrolled: 1-line block ×3, first 2 shown]
	ds_write2st64_b32 v126, v1, v0 offset0:4 offset1:6
	v_and_or_b32 v0, v55, s16, v47
	v_fma_f16 v34, v34, 2.0, -v38
	v_fma_f16 v41, v42, 2.0, -v29
	;; [unrolled: 1-line block ×4, first 2 shown]
	v_lshlrev_b32_e32 v127, 2, v0
	v_pack_b32_f16 v0, v33, v40
	v_pack_b32_f16 v1, v3, v35
	v_sub_f16_e32 v25, v34, v25
	v_sub_f16_e32 v30, v41, v30
	;; [unrolled: 1-line block ×3, first 2 shown]
	v_add_f16_e32 v36, v29, v36
	ds_write2st64_b32 v127, v0, v1 offset1:2
	v_pack_b32_f16 v0, v13, v15
	v_pack_b32_f16 v1, v39, v27
	s_movk_i32 s16, 0x3e00
	v_mad_u64_u32 v[26:27], s[10:11], v100, 28, s[10:11]
	v_fma_f16 v34, v34, 2.0, -v25
	v_fma_f16 v41, v41, 2.0, -v30
	;; [unrolled: 1-line block ×4, first 2 shown]
	ds_write2st64_b32 v127, v0, v1 offset0:4 offset1:6
	v_and_or_b32 v0, v58, s16, v47
	v_lshlrev_b32_e32 v118, 2, v0
	v_pack_b32_f16 v0, v34, v41
	v_pack_b32_f16 v1, v38, v29
	ds_write2st64_b32 v118, v0, v1 offset1:2
	v_pack_b32_f16 v0, v25, v30
	v_pack_b32_f16 v1, v37, v36
	buffer_store_dword v4, off, s[20:23], 0 offset:100 ; 4-byte Folded Spill
	ds_write2st64_b32 v118, v0, v1 offset0:4 offset1:6
	s_waitcnt vmcnt(0) lgkmcnt(0)
	s_barrier
	global_load_dwordx4 v[13:16], v[26:27], off offset:2016
	global_load_dwordx3 v[23:25], v[26:27], off offset:2032
	ds_read2st64_b32 v[34:35], v83 offset0:32 offset1:40
	ds_read2st64_b32 v[32:33], v83 offset0:64 offset1:72
	;; [unrolled: 1-line block ×4, first 2 shown]
	s_movk_i32 s10, 0x3000
	s_waitcnt lgkmcnt(3)
	v_lshrrev_b32_e32 v0, 16, v34
	s_waitcnt lgkmcnt(2)
	v_lshrrev_b32_e32 v1, 16, v32
	s_waitcnt lgkmcnt(1)
	v_lshrrev_b32_e32 v2, 16, v30
	s_waitcnt lgkmcnt(0)
	v_lshrrev_b32_e32 v3, 16, v28
	s_mov_b32 s11, 0x8000
	s_waitcnt vmcnt(1)
	v_mul_f16_sdwa v36, v0, v13 dst_sel:DWORD dst_unused:UNUSED_PAD src0_sel:DWORD src1_sel:WORD_1
	v_fma_f16 v44, v34, v13, -v36
	v_mul_f16_sdwa v34, v34, v13 dst_sel:DWORD dst_unused:UNUSED_PAD src0_sel:DWORD src1_sel:WORD_1
	v_fma_f16 v0, v0, v13, v34
	v_mul_f16_sdwa v34, v1, v14 dst_sel:DWORD dst_unused:UNUSED_PAD src0_sel:DWORD src1_sel:WORD_1
	v_fma_f16 v34, v32, v14, -v34
	v_mul_f16_sdwa v32, v32, v14 dst_sel:DWORD dst_unused:UNUSED_PAD src0_sel:DWORD src1_sel:WORD_1
	ds_read2st64_b32 v[36:37], v83 offset0:160 offset1:168
	v_fma_f16 v1, v1, v14, v32
	v_mul_f16_sdwa v32, v2, v15 dst_sel:DWORD dst_unused:UNUSED_PAD src0_sel:DWORD src1_sel:WORD_1
	v_fma_f16 v32, v30, v15, -v32
	v_mul_f16_sdwa v30, v30, v15 dst_sel:DWORD dst_unused:UNUSED_PAD src0_sel:DWORD src1_sel:WORD_1
	v_fma_f16 v2, v2, v15, v30
	v_mul_f16_sdwa v30, v28, v16 dst_sel:DWORD dst_unused:UNUSED_PAD src0_sel:DWORD src1_sel:WORD_1
	v_fma_f16 v30, v3, v16, v30
	v_mul_f16_sdwa v3, v3, v16 dst_sel:DWORD dst_unused:UNUSED_PAD src0_sel:DWORD src1_sel:WORD_1
	v_fma_f16 v3, v28, v16, -v3
	s_waitcnt lgkmcnt(0)
	v_lshrrev_b32_e32 v28, 16, v36
	s_waitcnt vmcnt(0)
	v_mul_f16_sdwa v38, v36, v23 dst_sel:DWORD dst_unused:UNUSED_PAD src0_sel:DWORD src1_sel:WORD_1
	v_fma_f16 v45, v28, v23, v38
	ds_read2st64_b32 v[38:39], v83 offset0:192 offset1:200
	v_mul_f16_sdwa v28, v28, v23 dst_sel:DWORD dst_unused:UNUSED_PAD src0_sel:DWORD src1_sel:WORD_1
	v_fma_f16 v28, v36, v23, -v28
	v_sub_f16_e32 v28, v44, v28
	v_sub_f16_e32 v45, v0, v45
	s_waitcnt lgkmcnt(0)
	v_lshrrev_b32_e32 v36, 16, v38
	v_mul_f16_sdwa v40, v38, v24 dst_sel:DWORD dst_unused:UNUSED_PAD src0_sel:DWORD src1_sel:WORD_1
	v_fma_f16 v46, v36, v24, v40
	ds_read2st64_b32 v[40:41], v83 offset0:224 offset1:232
	v_mul_f16_sdwa v36, v36, v24 dst_sel:DWORD dst_unused:UNUSED_PAD src0_sel:DWORD src1_sel:WORD_1
	v_fma_f16 v36, v38, v24, -v36
	v_sub_f16_e32 v46, v1, v46
	v_sub_f16_e32 v36, v34, v36
	s_waitcnt lgkmcnt(0)
	v_lshrrev_b32_e32 v38, 16, v40
	v_mul_f16_sdwa v42, v40, v25 dst_sel:DWORD dst_unused:UNUSED_PAD src0_sel:DWORD src1_sel:WORD_1
	v_fma_f16 v47, v38, v25, v42
	ds_read2st64_b32 v[42:43], v83 offset1:8
	v_mul_f16_sdwa v38, v38, v25 dst_sel:DWORD dst_unused:UNUSED_PAD src0_sel:DWORD src1_sel:WORD_1
	v_fma_f16 v38, v40, v25, -v38
	v_fma_f16 v34, v34, 2.0, -v36
	v_fma_f16 v1, v1, 2.0, -v46
	s_waitcnt lgkmcnt(0)
	v_sub_f16_e32 v3, v42, v3
	v_lshrrev_b32_e32 v40, 16, v42
	v_sub_f16_e32 v30, v40, v30
	v_sub_f16_e32 v60, v3, v46
	v_fma_f16 v40, v40, 2.0, -v30
	v_sub_f16_e32 v38, v32, v38
	v_sub_f16_e32 v47, v2, v47
	v_fma_f16 v46, v3, 2.0, -v60
	v_fma_f16 v3, v42, 2.0, -v3
	v_fma_f16 v44, v44, 2.0, -v28
	v_fma_f16 v0, v0, 2.0, -v45
	v_fma_f16 v32, v32, 2.0, -v38
	v_fma_f16 v2, v2, 2.0, -v47
	v_sub_f16_e32 v84, v28, v47
	v_sub_f16_e32 v34, v3, v34
	;; [unrolled: 1-line block ×3, first 2 shown]
	v_add_f16_e32 v36, v30, v36
	v_add_f16_e32 v38, v45, v38
	v_fma_f16 v28, v28, 2.0, -v84
	v_fma_f16 v1, v3, 2.0, -v34
	;; [unrolled: 1-line block ×3, first 2 shown]
	v_sub_f16_e32 v32, v44, v32
	v_sub_f16_e32 v40, v0, v2
	v_fma_f16 v30, v30, 2.0, -v36
	v_fma_f16 v45, v45, 2.0, -v38
	v_fma_f16 v47, v28, s8, v46
	v_fma_f16 v2, v44, 2.0, -v32
	v_fma_f16 v0, v0, 2.0, -v40
	v_fma_f16 v125, v45, s8, v47
	v_fma_f16 v45, v45, s8, v30
	v_sub_f16_e32 v4, v1, v2
	v_sub_f16_e32 v85, v3, v0
	v_fma_f16 v28, v28, s9, v45
	v_fma_f16 v0, v1, 2.0, -v4
	v_fma_f16 v1, v3, 2.0, -v85
	v_pack_b32_f16 v86, v0, v1
	v_fma_f16 v0, v46, 2.0, -v125
	v_fma_f16 v1, v30, 2.0, -v28
	v_pack_b32_f16 v30, v0, v1
	ds_read2st64_b32 v[44:45], v83 offset0:16 offset1:24
	ds_read2st64_b32 v[81:82], v83 offset0:48 offset1:56
	;; [unrolled: 1-line block ×8, first 2 shown]
	s_waitcnt lgkmcnt(0)
	s_barrier
	ds_write2st64_b32 v83, v86, v30 offset1:8
	v_fma_f16 v30, v84, s9, v60
	v_fma_f16 v30, v38, s8, v30
	;; [unrolled: 1-line block ×4, first 2 shown]
	v_sub_f16_e32 v40, v34, v40
	v_add_f16_e32 v32, v42, v32
	v_pack_b32_f16 v4, v4, v85
	v_pack_b32_f16 v28, v125, v28
	v_fma_f16 v34, v34, 2.0, -v40
	v_fma_f16 v42, v42, 2.0, -v32
	ds_write2st64_b32 v83, v4, v28 offset0:32 offset1:40
	v_pack_b32_f16 v4, v40, v32
	v_pack_b32_f16 v28, v30, v38
	;; [unrolled: 1-line block ×3, first 2 shown]
	v_fma_f16 v42, v60, 2.0, -v30
	ds_write2st64_b32 v83, v4, v28 offset0:48 offset1:56
	v_lshrrev_b32_e32 v4, 16, v35
	v_mul_f16_sdwa v30, v35, v13 dst_sel:DWORD dst_unused:UNUSED_PAD src0_sel:DWORD src1_sel:WORD_1
	v_mul_f16_sdwa v28, v4, v13 dst_sel:DWORD dst_unused:UNUSED_PAD src0_sel:DWORD src1_sel:WORD_1
	v_fma_f16 v4, v4, v13, v30
	v_lshrrev_b32_e32 v30, 16, v33
	v_mul_f16_sdwa v32, v30, v14 dst_sel:DWORD dst_unused:UNUSED_PAD src0_sel:DWORD src1_sel:WORD_1
	v_fma_f16 v36, v36, 2.0, -v38
	v_fma_f16 v32, v33, v14, -v32
	v_mul_f16_sdwa v33, v33, v14 dst_sel:DWORD dst_unused:UNUSED_PAD src0_sel:DWORD src1_sel:WORD_1
	v_pack_b32_f16 v36, v42, v36
	v_fma_f16 v30, v30, v14, v33
	v_lshrrev_b32_e32 v33, 16, v31
	ds_write2st64_b32 v83, v34, v36 offset0:16 offset1:24
	v_mul_f16_sdwa v34, v33, v15 dst_sel:DWORD dst_unused:UNUSED_PAD src0_sel:DWORD src1_sel:WORD_1
	v_fma_f16 v34, v31, v15, -v34
	v_mul_f16_sdwa v31, v31, v15 dst_sel:DWORD dst_unused:UNUSED_PAD src0_sel:DWORD src1_sel:WORD_1
	v_fma_f16 v31, v33, v15, v31
	v_lshrrev_b32_e32 v33, 16, v29
	v_fma_f16 v28, v35, v13, -v28
	v_mul_f16_sdwa v35, v33, v16 dst_sel:DWORD dst_unused:UNUSED_PAD src0_sel:DWORD src1_sel:WORD_1
	v_fma_f16 v35, v29, v16, -v35
	v_mul_f16_sdwa v29, v29, v16 dst_sel:DWORD dst_unused:UNUSED_PAD src0_sel:DWORD src1_sel:WORD_1
	v_fma_f16 v29, v33, v16, v29
	v_lshrrev_b32_e32 v33, 16, v37
	v_mul_f16_sdwa v36, v33, v23 dst_sel:DWORD dst_unused:UNUSED_PAD src0_sel:DWORD src1_sel:WORD_1
	v_fma_f16 v36, v37, v23, -v36
	v_mul_f16_sdwa v37, v37, v23 dst_sel:DWORD dst_unused:UNUSED_PAD src0_sel:DWORD src1_sel:WORD_1
	v_fma_f16 v33, v33, v23, v37
	v_lshrrev_b32_e32 v37, 16, v39
	;; [unrolled: 5-line block ×3, first 2 shown]
	v_mul_f16_sdwa v40, v39, v25 dst_sel:DWORD dst_unused:UNUSED_PAD src0_sel:DWORD src1_sel:WORD_1
	v_fma_f16 v40, v41, v25, -v40
	v_mul_f16_sdwa v41, v41, v25 dst_sel:DWORD dst_unused:UNUSED_PAD src0_sel:DWORD src1_sel:WORD_1
	v_fma_f16 v39, v39, v25, v41
	v_sub_f16_e32 v35, v43, v35
	v_lshrrev_b32_e32 v41, 16, v43
	v_sub_f16_e32 v37, v30, v37
	v_sub_f16_e32 v36, v28, v36
	;; [unrolled: 1-line block ×5, first 2 shown]
	v_fma_f16 v30, v30, 2.0, -v37
	v_sub_f16_e32 v33, v4, v33
	v_sub_f16_e32 v40, v34, v40
	v_fma_f16 v31, v31, 2.0, -v39
	v_sub_f16_e32 v37, v35, v37
	v_sub_f16_e32 v39, v36, v39
	v_fma_f16 v42, v43, 2.0, -v35
	v_fma_f16 v32, v32, 2.0, -v38
	;; [unrolled: 1-line block ×4, first 2 shown]
	v_add_f16_e32 v38, v29, v38
	v_fma_f16 v35, v35, 2.0, -v37
	v_add_f16_e32 v40, v33, v40
	v_fma_f16 v36, v36, 2.0, -v39
	v_fma_f16 v41, v41, 2.0, -v29
	;; [unrolled: 1-line block ×5, first 2 shown]
	v_fma_f16 v43, v36, s8, v35
	v_fma_f16 v43, v33, s8, v43
	;; [unrolled: 1-line block ×3, first 2 shown]
	v_sub_f16_e32 v32, v42, v32
	v_sub_f16_e32 v30, v41, v30
	;; [unrolled: 1-line block ×4, first 2 shown]
	v_fma_f16 v33, v36, s9, v33
	v_fma_f16 v36, v42, 2.0, -v32
	v_fma_f16 v41, v41, 2.0, -v30
	;; [unrolled: 1-line block ×4, first 2 shown]
	v_sub_f16_e32 v28, v36, v28
	v_sub_f16_e32 v4, v41, v4
	v_fma_f16 v36, v36, 2.0, -v28
	v_fma_f16 v41, v41, 2.0, -v4
	v_fma_f16 v35, v35, 2.0, -v43
	v_fma_f16 v29, v29, 2.0, -v33
	v_pack_b32_f16 v36, v36, v41
	v_pack_b32_f16 v29, v35, v29
	v_sub_f16_e32 v31, v32, v31
	v_add_f16_e32 v34, v30, v34
	v_pack_b32_f16 v4, v28, v4
	v_pack_b32_f16 v28, v43, v33
	ds_write2st64_b32 v83, v36, v29 offset0:64 offset1:72
	v_fma_f16 v29, v39, s9, v37
	v_fma_f16 v35, v40, s9, v38
	v_fma_f16 v30, v30, 2.0, -v34
	ds_write2st64_b32 v83, v4, v28 offset0:96 offset1:104
	v_pack_b32_f16 v4, v31, v34
	v_lshrrev_b32_e32 v33, 16, v0
	v_mul_f16_sdwa v34, v0, v16 dst_sel:DWORD dst_unused:UNUSED_PAD src0_sel:DWORD src1_sel:WORD_1
	v_fma_f16 v29, v40, s8, v29
	v_fma_f16 v35, v39, s9, v35
	v_fma_f16 v32, v32, 2.0, -v31
	v_fma_f16 v34, v33, v16, v34
	v_mul_f16_sdwa v33, v33, v16 dst_sel:DWORD dst_unused:UNUSED_PAD src0_sel:DWORD src1_sel:WORD_1
	v_pack_b32_f16 v30, v32, v30
	v_fma_f16 v32, v37, 2.0, -v29
	v_fma_f16 v36, v38, 2.0, -v35
	v_pack_b32_f16 v28, v29, v35
	v_fma_f16 v0, v0, v16, -v33
	v_lshrrev_b32_e32 v33, 16, v2
	v_mul_f16_sdwa v35, v2, v23 dst_sel:DWORD dst_unused:UNUSED_PAD src0_sel:DWORD src1_sel:WORD_1
	v_pack_b32_f16 v32, v32, v36
	ds_write2st64_b32 v83, v4, v28 offset0:112 offset1:120
	v_lshrrev_b32_e32 v4, 16, v81
	v_mul_f16_sdwa v28, v81, v13 dst_sel:DWORD dst_unused:UNUSED_PAD src0_sel:DWORD src1_sel:WORD_1
	v_fma_f16 v35, v33, v23, v35
	v_mul_f16_sdwa v33, v33, v23 dst_sel:DWORD dst_unused:UNUSED_PAD src0_sel:DWORD src1_sel:WORD_1
	ds_write2st64_b32 v83, v30, v32 offset0:80 offset1:88
	v_fma_f16 v28, v4, v13, v28
	v_mul_f16_sdwa v4, v4, v13 dst_sel:DWORD dst_unused:UNUSED_PAD src0_sel:DWORD src1_sel:WORD_1
	v_lshrrev_b32_e32 v29, 16, v120
	v_mul_f16_sdwa v30, v120, v14 dst_sel:DWORD dst_unused:UNUSED_PAD src0_sel:DWORD src1_sel:WORD_1
	v_lshrrev_b32_e32 v31, 16, v122
	v_mul_f16_sdwa v32, v122, v15 dst_sel:DWORD dst_unused:UNUSED_PAD src0_sel:DWORD src1_sel:WORD_1
	v_fma_f16 v2, v2, v23, -v33
	v_lshrrev_b32_e32 v33, 16, v48
	v_mul_f16_sdwa v36, v48, v24 dst_sel:DWORD dst_unused:UNUSED_PAD src0_sel:DWORD src1_sel:WORD_1
	v_lshrrev_b32_e32 v37, 16, v46
	v_mul_f16_sdwa v38, v46, v25 dst_sel:DWORD dst_unused:UNUSED_PAD src0_sel:DWORD src1_sel:WORD_1
	v_fma_f16 v4, v81, v13, -v4
	v_fma_f16 v30, v29, v14, v30
	v_mul_f16_sdwa v29, v29, v14 dst_sel:DWORD dst_unused:UNUSED_PAD src0_sel:DWORD src1_sel:WORD_1
	v_fma_f16 v32, v31, v15, v32
	v_mul_f16_sdwa v31, v31, v15 dst_sel:DWORD dst_unused:UNUSED_PAD src0_sel:DWORD src1_sel:WORD_1
	;; [unrolled: 2-line block ×4, first 2 shown]
	v_fma_f16 v29, v120, v14, -v29
	v_fma_f16 v31, v122, v15, -v31
	;; [unrolled: 1-line block ×4, first 2 shown]
	v_sub_f16_e32 v0, v44, v0
	v_lshrrev_b32_e32 v39, 16, v44
	v_sub_f16_e32 v36, v30, v36
	v_sub_f16_e32 v2, v4, v2
	;; [unrolled: 1-line block ×5, first 2 shown]
	v_fma_f16 v30, v30, 2.0, -v36
	v_sub_f16_e32 v35, v28, v35
	v_sub_f16_e32 v37, v31, v37
	v_fma_f16 v32, v32, 2.0, -v38
	v_sub_f16_e32 v36, v0, v36
	v_sub_f16_e32 v38, v2, v38
	v_fma_f16 v29, v29, 2.0, -v33
	v_fma_f16 v4, v4, 2.0, -v2
	;; [unrolled: 1-line block ×3, first 2 shown]
	v_add_f16_e32 v33, v34, v33
	v_add_f16_e32 v37, v35, v37
	v_fma_f16 v2, v2, 2.0, -v38
	v_fma_f16 v40, v0, 2.0, -v36
	;; [unrolled: 1-line block ×6, first 2 shown]
	v_fma_f16 v41, v2, s8, v40
	v_fma_f16 v0, v44, 2.0, -v0
	v_fma_f16 v41, v35, s8, v41
	v_fma_f16 v35, v35, s8, v34
	v_sub_f16_e32 v29, v0, v29
	v_sub_f16_e32 v30, v39, v30
	;; [unrolled: 1-line block ×4, first 2 shown]
	v_fma_f16 v2, v2, s9, v35
	v_fma_f16 v0, v0, 2.0, -v29
	v_fma_f16 v35, v39, 2.0, -v30
	v_fma_f16 v4, v4, 2.0, -v31
	v_fma_f16 v28, v28, 2.0, -v32
	v_sub_f16_e32 v4, v0, v4
	v_sub_f16_e32 v28, v35, v28
	v_fma_f16 v0, v0, 2.0, -v4
	v_fma_f16 v35, v35, 2.0, -v28
	v_pack_b32_f16 v0, v0, v35
	v_fma_f16 v35, v40, 2.0, -v41
	v_fma_f16 v34, v34, 2.0, -v2
	v_pack_b32_f16 v34, v35, v34
	ds_write2st64_b32 v83, v0, v34 offset0:128 offset1:136
	v_fma_f16 v0, v38, s9, v36
	v_fma_f16 v34, v37, s9, v33
	v_sub_f16_e32 v32, v29, v32
	v_add_f16_e32 v31, v30, v31
	v_fma_f16 v0, v37, s8, v0
	v_fma_f16 v34, v38, s9, v34
	v_fma_f16 v29, v29, 2.0, -v32
	v_fma_f16 v30, v30, 2.0, -v31
	v_pack_b32_f16 v4, v4, v28
	v_pack_b32_f16 v2, v41, v2
	;; [unrolled: 1-line block ×3, first 2 shown]
	v_fma_f16 v30, v36, 2.0, -v0
	v_fma_f16 v33, v33, 2.0, -v34
	ds_write2st64_b32 v83, v4, v2 offset0:160 offset1:168
	v_pack_b32_f16 v2, v32, v31
	v_pack_b32_f16 v0, v0, v34
	v_pack_b32_f16 v30, v30, v33
	ds_write2st64_b32 v83, v2, v0 offset0:176 offset1:184
	v_lshrrev_b32_e32 v0, 16, v82
	v_mul_f16_sdwa v4, v82, v13 dst_sel:DWORD dst_unused:UNUSED_PAD src0_sel:DWORD src1_sel:WORD_1
	ds_write2st64_b32 v83, v29, v30 offset0:144 offset1:152
	v_mul_f16_sdwa v2, v0, v13 dst_sel:DWORD dst_unused:UNUSED_PAD src0_sel:DWORD src1_sel:WORD_1
	v_fma_f16 v0, v0, v13, v4
	v_lshrrev_b32_e32 v4, 16, v121
	v_mul_f16_sdwa v29, v121, v14 dst_sel:DWORD dst_unused:UNUSED_PAD src0_sel:DWORD src1_sel:WORD_1
	v_mul_f16_sdwa v28, v4, v14 dst_sel:DWORD dst_unused:UNUSED_PAD src0_sel:DWORD src1_sel:WORD_1
	v_fma_f16 v4, v4, v14, v29
	v_lshrrev_b32_e32 v29, 16, v123
	v_mul_f16_sdwa v31, v123, v15 dst_sel:DWORD dst_unused:UNUSED_PAD src0_sel:DWORD src1_sel:WORD_1
	;; [unrolled: 4-line block ×3, first 2 shown]
	v_fma_f16 v32, v1, v16, -v32
	v_mul_f16_sdwa v1, v1, v16 dst_sel:DWORD dst_unused:UNUSED_PAD src0_sel:DWORD src1_sel:WORD_1
	v_fma_f16 v1, v31, v16, v1
	v_lshrrev_b32_e32 v31, 16, v3
	v_mul_f16_sdwa v33, v31, v23 dst_sel:DWORD dst_unused:UNUSED_PAD src0_sel:DWORD src1_sel:WORD_1
	v_fma_f16 v33, v3, v23, -v33
	v_mul_f16_sdwa v3, v3, v23 dst_sel:DWORD dst_unused:UNUSED_PAD src0_sel:DWORD src1_sel:WORD_1
	v_fma_f16 v3, v31, v23, v3
	v_lshrrev_b32_e32 v31, 16, v49
	v_mul_f16_sdwa v35, v49, v24 dst_sel:DWORD dst_unused:UNUSED_PAD src0_sel:DWORD src1_sel:WORD_1
	v_mul_f16_sdwa v34, v31, v24 dst_sel:DWORD dst_unused:UNUSED_PAD src0_sel:DWORD src1_sel:WORD_1
	v_fma_f16 v31, v31, v24, v35
	v_lshrrev_b32_e32 v35, 16, v47
	v_mul_f16_sdwa v37, v47, v25 dst_sel:DWORD dst_unused:UNUSED_PAD src0_sel:DWORD src1_sel:WORD_1
	v_fma_f16 v2, v82, v13, -v2
	v_mul_f16_sdwa v36, v35, v25 dst_sel:DWORD dst_unused:UNUSED_PAD src0_sel:DWORD src1_sel:WORD_1
	v_fma_f16 v35, v35, v25, v37
	v_fma_f16 v28, v121, v14, -v28
	v_fma_f16 v30, v123, v15, -v30
	;; [unrolled: 1-line block ×4, first 2 shown]
	v_sub_f16_e32 v32, v45, v32
	v_lshrrev_b32_e32 v37, 16, v45
	v_sub_f16_e32 v31, v4, v31
	v_sub_f16_e32 v33, v2, v33
	;; [unrolled: 1-line block ×5, first 2 shown]
	v_fma_f16 v4, v4, 2.0, -v31
	v_sub_f16_e32 v3, v0, v3
	v_sub_f16_e32 v36, v30, v36
	v_fma_f16 v29, v29, 2.0, -v35
	v_sub_f16_e32 v31, v32, v31
	v_sub_f16_e32 v35, v33, v35
	v_fma_f16 v38, v45, 2.0, -v32
	v_fma_f16 v28, v28, 2.0, -v34
	v_fma_f16 v2, v2, 2.0, -v33
	v_fma_f16 v30, v30, 2.0, -v36
	v_add_f16_e32 v34, v1, v34
	v_fma_f16 v32, v32, 2.0, -v31
	v_add_f16_e32 v36, v3, v36
	v_fma_f16 v33, v33, 2.0, -v35
	v_fma_f16 v37, v37, 2.0, -v1
	;; [unrolled: 1-line block ×5, first 2 shown]
	v_fma_f16 v39, v33, s8, v32
	v_fma_f16 v39, v3, s8, v39
	v_fma_f16 v3, v3, s8, v1
	v_fma_f16 v3, v33, s9, v3
	v_fma_f16 v33, v35, s9, v31
	v_fma_f16 v33, v36, s8, v33
	v_fma_f16 v36, v36, s9, v34
	v_sub_f16_e32 v28, v38, v28
	v_sub_f16_e32 v4, v37, v4
	;; [unrolled: 1-line block ×4, first 2 shown]
	v_fma_f16 v35, v35, s9, v36
	v_fma_f16 v36, v38, 2.0, -v28
	v_fma_f16 v37, v37, 2.0, -v4
	;; [unrolled: 1-line block ×4, first 2 shown]
	v_sub_f16_e32 v2, v36, v2
	v_sub_f16_e32 v0, v37, v0
	v_fma_f16 v36, v36, 2.0, -v2
	v_fma_f16 v37, v37, 2.0, -v0
	;; [unrolled: 1-line block ×4, first 2 shown]
	v_sub_f16_e32 v29, v28, v29
	v_add_f16_e32 v30, v4, v30
	v_fma_f16 v28, v28, 2.0, -v29
	v_fma_f16 v4, v4, 2.0, -v30
	;; [unrolled: 1-line block ×4, first 2 shown]
	v_pack_b32_f16 v36, v36, v37
	v_pack_b32_f16 v1, v32, v1
	ds_write2st64_b32 v83, v36, v1 offset0:192 offset1:200
	v_pack_b32_f16 v1, v28, v4
	v_pack_b32_f16 v4, v31, v34
	ds_write2st64_b32 v83, v1, v4 offset0:208 offset1:216
	v_pack_b32_f16 v0, v2, v0
	v_pack_b32_f16 v1, v39, v3
	v_sub_co_u32_e32 v44, vcc, v26, v50
	ds_write2st64_b32 v83, v0, v1 offset0:224 offset1:232
	v_pack_b32_f16 v0, v29, v30
	v_pack_b32_f16 v1, v33, v35
	v_subbrev_co_u32_e32 v45, vcc, 0, v27, vcc
	ds_write2st64_b32 v83, v0, v1 offset0:240 offset1:248
	v_add_co_u32_e32 v0, vcc, s10, v44
	v_addc_co_u32_e32 v1, vcc, 0, v45, vcc
	s_waitcnt lgkmcnt(0)
	s_barrier
	global_load_dwordx3 v[29:31], v[0:1], off offset:4064
	s_movk_i32 s10, 0x5000
	v_add_co_u32_e32 v0, vcc, s10, v44
	v_addc_co_u32_e32 v1, vcc, 0, v45, vcc
	global_load_dwordx3 v[26:28], v[0:1], off offset:2016
	ds_read2st64_b32 v[0:1], v83 offset0:64 offset1:72
	ds_read2st64_b32 v[2:3], v83 offset0:128 offset1:136
	s_movk_i32 s10, 0x6000
	s_waitcnt lgkmcnt(1)
	v_lshrrev_b32_e32 v4, 16, v0
	s_waitcnt lgkmcnt(0)
	v_lshrrev_b32_e32 v32, 16, v2
	v_lshrrev_b32_e32 v33, 16, v1
	;; [unrolled: 1-line block ×3, first 2 shown]
	s_waitcnt vmcnt(1)
	v_mul_f16_sdwa v35, v4, v29 dst_sel:DWORD dst_unused:UNUSED_PAD src0_sel:DWORD src1_sel:WORD_1
	v_fma_f16 v36, v0, v29, -v35
	v_mul_f16_sdwa v0, v0, v29 dst_sel:DWORD dst_unused:UNUSED_PAD src0_sel:DWORD src1_sel:WORD_1
	v_fma_f16 v4, v4, v29, v0
	v_mul_f16_sdwa v0, v32, v30 dst_sel:DWORD dst_unused:UNUSED_PAD src0_sel:DWORD src1_sel:WORD_1
	v_fma_f16 v37, v2, v30, -v0
	v_mul_f16_sdwa v0, v2, v30 dst_sel:DWORD dst_unused:UNUSED_PAD src0_sel:DWORD src1_sel:WORD_1
	v_fma_f16 v38, v32, v30, v0
	s_waitcnt vmcnt(0)
	v_mul_f16_sdwa v0, v33, v26 dst_sel:DWORD dst_unused:UNUSED_PAD src0_sel:DWORD src1_sel:WORD_1
	v_fma_f16 v32, v1, v26, -v0
	v_mul_f16_sdwa v0, v1, v26 dst_sel:DWORD dst_unused:UNUSED_PAD src0_sel:DWORD src1_sel:WORD_1
	ds_read2st64_b32 v[1:2], v83 offset0:192 offset1:200
	v_fma_f16 v33, v33, v26, v0
	v_mul_f16_sdwa v0, v34, v27 dst_sel:DWORD dst_unused:UNUSED_PAD src0_sel:DWORD src1_sel:WORD_1
	v_fma_f16 v39, v3, v27, -v0
	v_mul_f16_sdwa v0, v3, v27 dst_sel:DWORD dst_unused:UNUSED_PAD src0_sel:DWORD src1_sel:WORD_1
	v_fma_f16 v0, v34, v27, v0
	s_waitcnt lgkmcnt(0)
	v_lshrrev_b32_e32 v3, 16, v1
	v_mul_f16_sdwa v34, v1, v31 dst_sel:DWORD dst_unused:UNUSED_PAD src0_sel:DWORD src1_sel:WORD_1
	v_fma_f16 v40, v3, v31, v34
	v_mul_f16_sdwa v3, v3, v31 dst_sel:DWORD dst_unused:UNUSED_PAD src0_sel:DWORD src1_sel:WORD_1
	v_fma_f16 v3, v1, v31, -v3
	v_lshrrev_b32_e32 v1, 16, v2
	v_mul_f16_sdwa v34, v1, v28 dst_sel:DWORD dst_unused:UNUSED_PAD src0_sel:DWORD src1_sel:WORD_1
	v_fma_f16 v34, v2, v28, -v34
	v_mul_f16_sdwa v2, v2, v28 dst_sel:DWORD dst_unused:UNUSED_PAD src0_sel:DWORD src1_sel:WORD_1
	v_fma_f16 v35, v1, v28, v2
	ds_read2st64_b32 v[1:2], v83 offset1:8
	v_sub_f16_e32 v3, v36, v3
	v_sub_f16_e32 v40, v4, v40
	v_fma_f16 v36, v36, 2.0, -v3
	v_fma_f16 v4, v4, 2.0, -v40
	s_waitcnt lgkmcnt(0)
	v_lshrrev_b32_e32 v41, 16, v1
	v_sub_f16_e32 v37, v1, v37
	v_sub_f16_e32 v38, v41, v38
	v_fma_f16 v1, v1, 2.0, -v37
	v_fma_f16 v41, v41, 2.0, -v38
	v_lshrrev_b32_e32 v42, 16, v2
	v_sub_f16_e32 v36, v1, v36
	v_sub_f16_e32 v4, v41, v4
	;; [unrolled: 1-line block ×3, first 2 shown]
	v_fma_f16 v1, v1, 2.0, -v36
	v_fma_f16 v41, v41, 2.0, -v4
	v_pack_b32_f16 v4, v36, v4
	v_sub_f16_e32 v36, v42, v0
	v_sub_f16_e32 v34, v32, v34
	;; [unrolled: 1-line block ×3, first 2 shown]
	v_fma_f16 v2, v2, 2.0, -v39
	v_fma_f16 v0, v42, 2.0, -v36
	;; [unrolled: 1-line block ×4, first 2 shown]
	v_sub_f16_e32 v32, v2, v32
	v_sub_f16_e32 v33, v0, v33
	v_fma_f16 v2, v2, 2.0, -v32
	v_fma_f16 v0, v0, 2.0, -v33
	v_pack_b32_f16 v1, v1, v41
	v_sub_f16_e32 v40, v37, v40
	v_add_f16_e32 v3, v38, v3
	v_pack_b32_f16 v0, v2, v0
	v_fma_f16 v37, v37, 2.0, -v40
	v_fma_f16 v38, v38, 2.0, -v3
	v_pack_b32_f16 v3, v40, v3
	ds_write2st64_b32 v83, v1, v0 offset1:8
	v_add_co_u32_e32 v0, vcc, s10, v44
	v_sub_f16_e32 v2, v39, v35
	v_add_f16_e32 v40, v36, v34
	v_addc_co_u32_e32 v1, vcc, 0, v45, vcc
	v_fma_f16 v34, v39, 2.0, -v2
	v_fma_f16 v35, v36, 2.0, -v40
	v_pack_b32_f16 v38, v37, v38
	v_pack_b32_f16 v34, v34, v35
	global_load_dwordx3 v[35:37], v[0:1], off offset:4064
	v_add_co_u32_e32 v0, vcc, s11, v44
	v_addc_co_u32_e32 v1, vcc, 0, v45, vcc
	ds_write2st64_b32 v83, v38, v34 offset0:64 offset1:72
	v_pack_b32_f16 v38, v32, v33
	global_load_dwordx3 v[32:34], v[0:1], off offset:2016
	ds_read2st64_b32 v[0:1], v83 offset0:80 offset1:88
	v_pack_b32_f16 v2, v2, v40
	ds_write2st64_b32 v83, v4, v38 offset0:128 offset1:136
	ds_write2st64_b32 v83, v3, v2 offset0:192 offset1:200
	s_mov_b32 s10, 0x9000
	s_waitcnt lgkmcnt(2)
	v_lshrrev_b32_e32 v4, 16, v0
	v_lshrrev_b32_e32 v2, 16, v1
	s_mov_b32 s11, 0xe000
	s_waitcnt vmcnt(1)
	v_mul_f16_sdwa v3, v0, v35 dst_sel:DWORD dst_unused:UNUSED_PAD src0_sel:DWORD src1_sel:WORD_1
	v_fma_f16 v3, v4, v35, v3
	v_mul_f16_sdwa v4, v4, v35 dst_sel:DWORD dst_unused:UNUSED_PAD src0_sel:DWORD src1_sel:WORD_1
	v_fma_f16 v4, v0, v35, -v4
	s_waitcnt vmcnt(0)
	v_mul_f16_sdwa v0, v2, v32 dst_sel:DWORD dst_unused:UNUSED_PAD src0_sel:DWORD src1_sel:WORD_1
	v_fma_f16 v38, v1, v32, -v0
	v_mul_f16_sdwa v0, v1, v32 dst_sel:DWORD dst_unused:UNUSED_PAD src0_sel:DWORD src1_sel:WORD_1
	v_fma_f16 v2, v2, v32, v0
	ds_read2st64_b32 v[0:1], v83 offset0:144 offset1:152
	s_waitcnt lgkmcnt(0)
	v_lshrrev_b32_e32 v39, 16, v0
	v_mul_f16_sdwa v40, v0, v36 dst_sel:DWORD dst_unused:UNUSED_PAD src0_sel:DWORD src1_sel:WORD_1
	v_fma_f16 v40, v39, v36, v40
	v_mul_f16_sdwa v39, v39, v36 dst_sel:DWORD dst_unused:UNUSED_PAD src0_sel:DWORD src1_sel:WORD_1
	v_fma_f16 v39, v0, v36, -v39
	v_lshrrev_b32_e32 v0, 16, v1
	v_mul_f16_sdwa v41, v0, v33 dst_sel:DWORD dst_unused:UNUSED_PAD src0_sel:DWORD src1_sel:WORD_1
	v_fma_f16 v41, v1, v33, -v41
	v_mul_f16_sdwa v1, v1, v33 dst_sel:DWORD dst_unused:UNUSED_PAD src0_sel:DWORD src1_sel:WORD_1
	v_fma_f16 v42, v0, v33, v1
	ds_read2st64_b32 v[0:1], v83 offset0:208 offset1:216
	s_waitcnt lgkmcnt(0)
	v_lshrrev_b32_e32 v43, 16, v0
	v_mul_f16_sdwa v46, v0, v37 dst_sel:DWORD dst_unused:UNUSED_PAD src0_sel:DWORD src1_sel:WORD_1
	v_fma_f16 v46, v43, v37, v46
	v_mul_f16_sdwa v43, v43, v37 dst_sel:DWORD dst_unused:UNUSED_PAD src0_sel:DWORD src1_sel:WORD_1
	v_fma_f16 v43, v0, v37, -v43
	v_lshrrev_b32_e32 v0, 16, v1
	v_mul_f16_sdwa v47, v0, v34 dst_sel:DWORD dst_unused:UNUSED_PAD src0_sel:DWORD src1_sel:WORD_1
	v_fma_f16 v47, v1, v34, -v47
	v_mul_f16_sdwa v1, v1, v34 dst_sel:DWORD dst_unused:UNUSED_PAD src0_sel:DWORD src1_sel:WORD_1
	v_fma_f16 v48, v0, v34, v1
	ds_read2st64_b32 v[0:1], v83 offset0:16 offset1:24
	v_sub_f16_e32 v43, v4, v43
	v_sub_f16_e32 v46, v3, v46
	v_fma_f16 v4, v4, 2.0, -v43
	v_fma_f16 v3, v3, 2.0, -v46
	s_waitcnt lgkmcnt(0)
	v_lshrrev_b32_e32 v49, 16, v0
	v_sub_f16_e32 v39, v0, v39
	v_sub_f16_e32 v40, v49, v40
	v_fma_f16 v0, v0, 2.0, -v39
	v_fma_f16 v49, v49, 2.0, -v40
	v_lshrrev_b32_e32 v50, 16, v1
	v_sub_f16_e32 v4, v0, v4
	v_sub_f16_e32 v3, v49, v3
	;; [unrolled: 1-line block ×3, first 2 shown]
	v_fma_f16 v0, v0, 2.0, -v4
	v_fma_f16 v49, v49, 2.0, -v3
	v_sub_f16_e32 v42, v50, v42
	v_sub_f16_e32 v47, v38, v47
	;; [unrolled: 1-line block ×3, first 2 shown]
	v_fma_f16 v1, v1, 2.0, -v41
	v_pack_b32_f16 v0, v0, v49
	v_fma_f16 v49, v50, 2.0, -v42
	v_fma_f16 v38, v38, 2.0, -v47
	;; [unrolled: 1-line block ×3, first 2 shown]
	v_sub_f16_e32 v38, v1, v38
	v_sub_f16_e32 v2, v49, v2
	v_fma_f16 v1, v1, 2.0, -v38
	v_fma_f16 v49, v49, 2.0, -v2
	v_pack_b32_f16 v1, v1, v49
	ds_write2st64_b32 v83, v0, v1 offset0:16 offset1:24
	v_sub_f16_e32 v0, v39, v46
	v_add_f16_e32 v1, v40, v43
	v_fma_f16 v39, v39, 2.0, -v0
	v_fma_f16 v40, v40, 2.0, -v1
	v_pack_b32_f16 v39, v39, v40
	v_sub_f16_e32 v40, v41, v48
	v_add_f16_e32 v43, v42, v47
	v_pack_b32_f16 v3, v4, v3
	v_pack_b32_f16 v4, v0, v1
	;; [unrolled: 1-line block ×3, first 2 shown]
	v_fma_f16 v41, v41, 2.0, -v40
	v_fma_f16 v42, v42, 2.0, -v43
	ds_write2st64_b32 v83, v3, v0 offset0:144 offset1:152
	v_add_co_u32_e32 v0, vcc, s10, v44
	v_pack_b32_f16 v41, v41, v42
	v_addc_co_u32_e32 v1, vcc, 0, v45, vcc
	ds_write2st64_b32 v83, v39, v41 offset0:80 offset1:88
	v_pack_b32_f16 v2, v40, v43
	global_load_dwordx3 v[38:40], v[0:1], off offset:4064
	ds_read2st64_b32 v[0:1], v83 offset0:96 offset1:104
	ds_write2st64_b32 v83, v4, v2 offset0:208 offset1:216
	s_mov_b32 s10, 0xb000
	s_waitcnt lgkmcnt(1)
	v_lshrrev_b32_e32 v2, 16, v0
	s_waitcnt vmcnt(0)
	v_mul_f16_sdwa v3, v0, v38 dst_sel:DWORD dst_unused:UNUSED_PAD src0_sel:DWORD src1_sel:WORD_1
	v_fma_f16 v4, v2, v38, v3
	v_mul_f16_sdwa v2, v2, v38 dst_sel:DWORD dst_unused:UNUSED_PAD src0_sel:DWORD src1_sel:WORD_1
	v_fma_f16 v46, v0, v38, -v2
	v_add_co_u32_e32 v2, vcc, s10, v44
	v_addc_co_u32_e32 v3, vcc, 0, v45, vcc
	global_load_dwordx3 v[41:43], v[2:3], off offset:2016
	v_lshrrev_b32_e32 v0, 16, v1
	s_mov_b32 s10, 0xc000
	s_waitcnt vmcnt(0)
	v_mul_f16_sdwa v2, v0, v41 dst_sel:DWORD dst_unused:UNUSED_PAD src0_sel:DWORD src1_sel:WORD_1
	v_fma_f16 v2, v1, v41, -v2
	v_mul_f16_sdwa v1, v1, v41 dst_sel:DWORD dst_unused:UNUSED_PAD src0_sel:DWORD src1_sel:WORD_1
	v_fma_f16 v3, v0, v41, v1
	ds_read2st64_b32 v[0:1], v83 offset0:160 offset1:168
	s_waitcnt lgkmcnt(0)
	v_lshrrev_b32_e32 v47, 16, v0
	v_mul_f16_sdwa v48, v0, v39 dst_sel:DWORD dst_unused:UNUSED_PAD src0_sel:DWORD src1_sel:WORD_1
	v_fma_f16 v48, v47, v39, v48
	v_mul_f16_sdwa v47, v47, v39 dst_sel:DWORD dst_unused:UNUSED_PAD src0_sel:DWORD src1_sel:WORD_1
	v_fma_f16 v47, v0, v39, -v47
	v_lshrrev_b32_e32 v0, 16, v1
	v_mul_f16_sdwa v49, v0, v42 dst_sel:DWORD dst_unused:UNUSED_PAD src0_sel:DWORD src1_sel:WORD_1
	v_fma_f16 v49, v1, v42, -v49
	v_mul_f16_sdwa v1, v1, v42 dst_sel:DWORD dst_unused:UNUSED_PAD src0_sel:DWORD src1_sel:WORD_1
	v_fma_f16 v50, v0, v42, v1
	ds_read2st64_b32 v[0:1], v83 offset0:224 offset1:232
	s_waitcnt lgkmcnt(0)
	v_lshrrev_b32_e32 v60, 16, v0
	v_mul_f16_sdwa v81, v0, v40 dst_sel:DWORD dst_unused:UNUSED_PAD src0_sel:DWORD src1_sel:WORD_1
	v_fma_f16 v81, v60, v40, v81
	v_mul_f16_sdwa v60, v60, v40 dst_sel:DWORD dst_unused:UNUSED_PAD src0_sel:DWORD src1_sel:WORD_1
	v_fma_f16 v60, v0, v40, -v60
	v_lshrrev_b32_e32 v0, 16, v1
	v_mul_f16_sdwa v82, v0, v43 dst_sel:DWORD dst_unused:UNUSED_PAD src0_sel:DWORD src1_sel:WORD_1
	v_fma_f16 v82, v1, v43, -v82
	v_mul_f16_sdwa v1, v1, v43 dst_sel:DWORD dst_unused:UNUSED_PAD src0_sel:DWORD src1_sel:WORD_1
	v_fma_f16 v84, v0, v43, v1
	ds_read2st64_b32 v[0:1], v83 offset0:32 offset1:40
	v_sub_f16_e32 v60, v46, v60
	v_sub_f16_e32 v81, v4, v81
	v_fma_f16 v46, v46, 2.0, -v60
	v_fma_f16 v4, v4, 2.0, -v81
	s_waitcnt lgkmcnt(0)
	v_lshrrev_b32_e32 v85, 16, v0
	v_sub_f16_e32 v47, v0, v47
	v_sub_f16_e32 v48, v85, v48
	v_fma_f16 v0, v0, 2.0, -v47
	v_fma_f16 v85, v85, 2.0, -v48
	v_lshrrev_b32_e32 v86, 16, v1
	v_sub_f16_e32 v46, v0, v46
	v_sub_f16_e32 v4, v85, v4
	;; [unrolled: 1-line block ×3, first 2 shown]
	v_fma_f16 v0, v0, 2.0, -v46
	v_fma_f16 v85, v85, 2.0, -v4
	v_sub_f16_e32 v50, v86, v50
	v_sub_f16_e32 v82, v2, v82
	;; [unrolled: 1-line block ×3, first 2 shown]
	v_fma_f16 v1, v1, 2.0, -v49
	v_pack_b32_f16 v0, v0, v85
	v_fma_f16 v85, v86, 2.0, -v50
	v_fma_f16 v2, v2, 2.0, -v82
	;; [unrolled: 1-line block ×3, first 2 shown]
	v_sub_f16_e32 v2, v1, v2
	v_sub_f16_e32 v3, v85, v3
	v_fma_f16 v1, v1, 2.0, -v2
	v_fma_f16 v85, v85, 2.0, -v3
	v_pack_b32_f16 v1, v1, v85
	ds_write2st64_b32 v83, v0, v1 offset0:32 offset1:40
	v_sub_f16_e32 v0, v47, v81
	v_add_f16_e32 v1, v48, v60
	v_fma_f16 v47, v47, 2.0, -v0
	v_fma_f16 v48, v48, 2.0, -v1
	v_pack_b32_f16 v47, v47, v48
	v_sub_f16_e32 v48, v49, v84
	v_add_f16_e32 v60, v50, v82
	v_pack_b32_f16 v0, v0, v1
	v_pack_b32_f16 v1, v48, v60
	v_fma_f16 v49, v49, 2.0, -v48
	v_fma_f16 v50, v50, 2.0, -v60
	ds_write2st64_b32 v83, v0, v1 offset0:224 offset1:232
	v_add_co_u32_e32 v0, vcc, s10, v44
	v_pack_b32_f16 v49, v49, v50
	v_addc_co_u32_e32 v1, vcc, 0, v45, vcc
	ds_write2st64_b32 v83, v47, v49 offset0:96 offset1:104
	global_load_dwordx3 v[47:49], v[0:1], off offset:4064
	ds_read2st64_b32 v[0:1], v83 offset0:112 offset1:120
	v_pack_b32_f16 v4, v46, v4
	v_pack_b32_f16 v2, v2, v3
	ds_write2st64_b32 v83, v4, v2 offset0:160 offset1:168
	v_add_co_u32_e32 v2, vcc, s11, v44
	v_addc_co_u32_e32 v3, vcc, 0, v45, vcc
	s_waitcnt lgkmcnt(1)
	v_lshrrev_b32_e32 v4, 16, v0
	s_waitcnt vmcnt(0)
	v_mul_f16_sdwa v44, v0, v47 dst_sel:DWORD dst_unused:UNUSED_PAD src0_sel:DWORD src1_sel:WORD_1
	v_fma_f16 v50, v4, v47, v44
	global_load_dwordx3 v[44:46], v[2:3], off offset:2016
	v_mul_f16_sdwa v4, v4, v47 dst_sel:DWORD dst_unused:UNUSED_PAD src0_sel:DWORD src1_sel:WORD_1
	v_fma_f16 v4, v0, v47, -v4
	v_lshrrev_b32_e32 v0, 16, v1
	s_waitcnt vmcnt(0)
	v_mul_f16_sdwa v2, v0, v44 dst_sel:DWORD dst_unused:UNUSED_PAD src0_sel:DWORD src1_sel:WORD_1
	v_fma_f16 v2, v1, v44, -v2
	v_mul_f16_sdwa v1, v1, v44 dst_sel:DWORD dst_unused:UNUSED_PAD src0_sel:DWORD src1_sel:WORD_1
	v_fma_f16 v3, v0, v44, v1
	ds_read2st64_b32 v[0:1], v83 offset0:176 offset1:184
	s_waitcnt lgkmcnt(0)
	v_lshrrev_b32_e32 v60, 16, v0
	v_mul_f16_sdwa v81, v0, v48 dst_sel:DWORD dst_unused:UNUSED_PAD src0_sel:DWORD src1_sel:WORD_1
	v_fma_f16 v81, v60, v48, v81
	v_mul_f16_sdwa v60, v60, v48 dst_sel:DWORD dst_unused:UNUSED_PAD src0_sel:DWORD src1_sel:WORD_1
	v_fma_f16 v60, v0, v48, -v60
	v_lshrrev_b32_e32 v0, 16, v1
	v_mul_f16_sdwa v82, v0, v45 dst_sel:DWORD dst_unused:UNUSED_PAD src0_sel:DWORD src1_sel:WORD_1
	v_fma_f16 v82, v1, v45, -v82
	v_mul_f16_sdwa v1, v1, v45 dst_sel:DWORD dst_unused:UNUSED_PAD src0_sel:DWORD src1_sel:WORD_1
	v_fma_f16 v84, v0, v45, v1
	ds_read2st64_b32 v[0:1], v83 offset0:240 offset1:248
	s_waitcnt lgkmcnt(0)
	v_lshrrev_b32_e32 v85, 16, v0
	v_mul_f16_sdwa v86, v0, v49 dst_sel:DWORD dst_unused:UNUSED_PAD src0_sel:DWORD src1_sel:WORD_1
	v_fma_f16 v86, v85, v49, v86
	v_mul_f16_sdwa v85, v85, v49 dst_sel:DWORD dst_unused:UNUSED_PAD src0_sel:DWORD src1_sel:WORD_1
	v_fma_f16 v85, v0, v49, -v85
	v_lshrrev_b32_e32 v0, 16, v1
	v_mul_f16_sdwa v120, v0, v46 dst_sel:DWORD dst_unused:UNUSED_PAD src0_sel:DWORD src1_sel:WORD_1
	v_fma_f16 v120, v1, v46, -v120
	v_mul_f16_sdwa v1, v1, v46 dst_sel:DWORD dst_unused:UNUSED_PAD src0_sel:DWORD src1_sel:WORD_1
	v_fma_f16 v121, v0, v46, v1
	ds_read2st64_b32 v[0:1], v83 offset0:48 offset1:56
	v_sub_f16_e32 v85, v4, v85
	v_sub_f16_e32 v86, v50, v86
	v_fma_f16 v4, v4, 2.0, -v85
	v_fma_f16 v50, v50, 2.0, -v86
	s_waitcnt lgkmcnt(0)
	v_lshrrev_b32_e32 v122, 16, v0
	v_sub_f16_e32 v60, v0, v60
	v_sub_f16_e32 v81, v122, v81
	v_fma_f16 v0, v0, 2.0, -v60
	v_fma_f16 v122, v122, 2.0, -v81
	v_lshrrev_b32_e32 v123, 16, v1
	v_sub_f16_e32 v4, v0, v4
	v_sub_f16_e32 v50, v122, v50
	;; [unrolled: 1-line block ×3, first 2 shown]
	v_fma_f16 v0, v0, 2.0, -v4
	v_fma_f16 v122, v122, 2.0, -v50
	v_sub_f16_e32 v84, v123, v84
	v_sub_f16_e32 v120, v2, v120
	;; [unrolled: 1-line block ×3, first 2 shown]
	v_fma_f16 v1, v1, 2.0, -v82
	v_pack_b32_f16 v0, v0, v122
	v_fma_f16 v122, v123, 2.0, -v84
	v_fma_f16 v2, v2, 2.0, -v120
	;; [unrolled: 1-line block ×3, first 2 shown]
	v_sub_f16_e32 v2, v1, v2
	v_sub_f16_e32 v3, v122, v3
	v_fma_f16 v1, v1, 2.0, -v2
	v_fma_f16 v122, v122, 2.0, -v3
	v_pack_b32_f16 v1, v1, v122
	ds_write2st64_b32 v83, v0, v1 offset0:48 offset1:56
	v_sub_f16_e32 v0, v60, v86
	v_add_f16_e32 v1, v81, v85
	v_fma_f16 v60, v60, 2.0, -v0
	v_fma_f16 v81, v81, 2.0, -v1
	v_pack_b32_f16 v60, v60, v81
	v_sub_f16_e32 v81, v82, v121
	v_add_f16_e32 v85, v84, v120
	v_fma_f16 v82, v82, 2.0, -v81
	v_fma_f16 v84, v84, 2.0, -v85
	v_pack_b32_f16 v82, v82, v84
	v_pack_b32_f16 v4, v4, v50
	;; [unrolled: 1-line block ×5, first 2 shown]
	ds_write2st64_b32 v83, v60, v82 offset0:112 offset1:120
	ds_write2st64_b32 v83, v4, v2 offset0:176 offset1:184
	;; [unrolled: 1-line block ×3, first 2 shown]
	s_waitcnt lgkmcnt(0)
	s_barrier
	global_load_dword v82, v70, s[6:7]
	global_load_dword v81, v71, s[6:7]
	s_nop 0
	global_load_dword v71, v73, s[6:7]
	global_load_dword v70, v75, s[6:7]
	;; [unrolled: 1-line block ×4, first 2 shown]
	global_load_dword v4, v83, s[6:7] offset:2048
	ds_read2st64_b32 v[0:1], v83 offset1:8
	s_waitcnt lgkmcnt(0)
	v_lshrrev_b32_e32 v50, 16, v0
	s_waitcnt vmcnt(1)
	v_mul_f16_sdwa v53, v0, v3 dst_sel:DWORD dst_unused:UNUSED_PAD src0_sel:DWORD src1_sel:WORD_1
	v_fma_f16 v53, v50, v3, v53
	v_mul_f16_sdwa v50, v50, v3 dst_sel:DWORD dst_unused:UNUSED_PAD src0_sel:DWORD src1_sel:WORD_1
	v_fma_f16 v0, v0, v3, -v50
	v_lshrrev_b32_e32 v3, 16, v1
	s_waitcnt vmcnt(0)
	v_mul_f16_sdwa v50, v3, v4 dst_sel:DWORD dst_unused:UNUSED_PAD src0_sel:DWORD src1_sel:WORD_1
	v_fma_f16 v50, v1, v4, -v50
	v_mul_f16_sdwa v1, v1, v4 dst_sel:DWORD dst_unused:UNUSED_PAD src0_sel:DWORD src1_sel:WORD_1
	v_fma_f16 v1, v3, v4, v1
	v_pack_b32_f16 v0, v0, v53
	v_pack_b32_f16 v1, v50, v1
	ds_write2st64_b32 v83, v0, v1 offset1:8
	ds_read2st64_b32 v[0:1], v83 offset0:32 offset1:40
	s_waitcnt lgkmcnt(0)
	v_lshrrev_b32_e32 v3, 16, v0
	v_mul_f16_sdwa v4, v0, v2 dst_sel:DWORD dst_unused:UNUSED_PAD src0_sel:DWORD src1_sel:WORD_1
	v_fma_f16 v4, v3, v2, v4
	v_mul_f16_sdwa v3, v3, v2 dst_sel:DWORD dst_unused:UNUSED_PAD src0_sel:DWORD src1_sel:WORD_1
	v_fma_f16 v0, v0, v2, -v3
	global_load_dword v2, v72, s[6:7]
	global_load_dword v3, v74, s[6:7]
	;; [unrolled: 1-line block ×5, first 2 shown]
	s_nop 0
	global_load_dword v72, v79, s[6:7]
	global_load_dword v53, v80, s[6:7]
	;; [unrolled: 1-line block ×3, first 2 shown]
	v_lshrrev_b32_e32 v75, 16, v1
	v_pack_b32_f16 v0, v0, v4
	s_waitcnt vmcnt(7)
	v_mul_f16_sdwa v76, v75, v2 dst_sel:DWORD dst_unused:UNUSED_PAD src0_sel:DWORD src1_sel:WORD_1
	v_fma_f16 v76, v1, v2, -v76
	v_mul_f16_sdwa v1, v1, v2 dst_sel:DWORD dst_unused:UNUSED_PAD src0_sel:DWORD src1_sel:WORD_1
	v_fma_f16 v1, v75, v2, v1
	global_load_dword v2, v87, s[6:7]
	v_pack_b32_f16 v1, v76, v1
	ds_write2st64_b32 v83, v0, v1 offset0:32 offset1:40
	ds_read2st64_b32 v[0:1], v83 offset0:64 offset1:72
	s_waitcnt lgkmcnt(0)
	v_lshrrev_b32_e32 v4, 16, v0
	s_waitcnt vmcnt(0)
	v_mul_f16_sdwa v75, v0, v2 dst_sel:DWORD dst_unused:UNUSED_PAD src0_sel:DWORD src1_sel:WORD_1
	v_fma_f16 v75, v4, v2, v75
	v_mul_f16_sdwa v4, v4, v2 dst_sel:DWORD dst_unused:UNUSED_PAD src0_sel:DWORD src1_sel:WORD_1
	v_fma_f16 v0, v0, v2, -v4
	v_lshrrev_b32_e32 v2, 16, v1
	v_mul_f16_sdwa v4, v2, v3 dst_sel:DWORD dst_unused:UNUSED_PAD src0_sel:DWORD src1_sel:WORD_1
	v_fma_f16 v4, v1, v3, -v4
	v_mul_f16_sdwa v1, v1, v3 dst_sel:DWORD dst_unused:UNUSED_PAD src0_sel:DWORD src1_sel:WORD_1
	v_fma_f16 v1, v2, v3, v1
	v_pack_b32_f16 v0, v0, v75
	v_pack_b32_f16 v1, v4, v1
	ds_write2st64_b32 v83, v0, v1 offset0:64 offset1:72
	ds_read2st64_b32 v[0:1], v83 offset0:96 offset1:104
	s_waitcnt lgkmcnt(0)
	v_lshrrev_b32_e32 v2, 16, v0
	v_mul_f16_sdwa v3, v0, v82 dst_sel:DWORD dst_unused:UNUSED_PAD src0_sel:DWORD src1_sel:WORD_1
	v_fma_f16 v3, v2, v82, v3
	v_mul_f16_sdwa v2, v2, v82 dst_sel:DWORD dst_unused:UNUSED_PAD src0_sel:DWORD src1_sel:WORD_1
	v_fma_f16 v0, v0, v82, -v2
	v_lshrrev_b32_e32 v2, 16, v1
	v_mul_f16_sdwa v4, v2, v50 dst_sel:DWORD dst_unused:UNUSED_PAD src0_sel:DWORD src1_sel:WORD_1
	v_fma_f16 v4, v1, v50, -v4
	v_mul_f16_sdwa v1, v1, v50 dst_sel:DWORD dst_unused:UNUSED_PAD src0_sel:DWORD src1_sel:WORD_1
	v_fma_f16 v1, v2, v50, v1
	v_pack_b32_f16 v0, v0, v3
	v_pack_b32_f16 v1, v4, v1
	ds_write2st64_b32 v83, v0, v1 offset0:96 offset1:104
	ds_read2st64_b32 v[0:1], v83 offset0:128 offset1:136
	s_waitcnt lgkmcnt(0)
	v_lshrrev_b32_e32 v2, 16, v0
	;; [unrolled: 15-line block ×3, first 2 shown]
	v_mul_f16_sdwa v3, v0, v71 dst_sel:DWORD dst_unused:UNUSED_PAD src0_sel:DWORD src1_sel:WORD_1
	v_fma_f16 v3, v2, v71, v3
	v_mul_f16_sdwa v2, v2, v71 dst_sel:DWORD dst_unused:UNUSED_PAD src0_sel:DWORD src1_sel:WORD_1
	v_fma_f16 v0, v0, v71, -v2
	v_pack_b32_f16 v2, v0, v3
	v_lshrrev_b32_e32 v0, 16, v1
	v_mul_f16_sdwa v3, v0, v73 dst_sel:DWORD dst_unused:UNUSED_PAD src0_sel:DWORD src1_sel:WORD_1
	v_fma_f16 v3, v1, v73, -v3
	v_mul_f16_sdwa v1, v1, v73 dst_sel:DWORD dst_unused:UNUSED_PAD src0_sel:DWORD src1_sel:WORD_1
	v_fma_f16 v4, v0, v73, v1
	ds_read2st64_b32 v[0:1], v83 offset0:192 offset1:200
	v_pack_b32_f16 v3, v3, v4
	ds_write2st64_b32 v83, v2, v3 offset0:160 offset1:168
	ds_read2st64_b32 v[2:3], v83 offset0:224 offset1:232
	s_waitcnt lgkmcnt(2)
	v_lshrrev_b32_e32 v50, 16, v0
	v_mul_f16_sdwa v60, v0, v70 dst_sel:DWORD dst_unused:UNUSED_PAD src0_sel:DWORD src1_sel:WORD_1
	v_fma_f16 v60, v50, v70, v60
	v_mul_f16_sdwa v50, v50, v70 dst_sel:DWORD dst_unused:UNUSED_PAD src0_sel:DWORD src1_sel:WORD_1
	v_fma_f16 v0, v0, v70, -v50
	v_pack_b32_f16 v0, v0, v60
	global_load_dword v54, v54, s[6:7]
	s_nop 0
	global_load_dword v55, v55, s[6:7]
	s_nop 0
	;; [unrolled: 2-line block ×3, first 2 shown]
	global_load_dword v69, v69, s[6:7]
	s_waitcnt lgkmcnt(0)
	v_lshrrev_b32_e32 v4, 16, v2
	v_mul_f16_sdwa v50, v2, v74 dst_sel:DWORD dst_unused:UNUSED_PAD src0_sel:DWORD src1_sel:WORD_1
	v_fma_f16 v50, v4, v74, v50
	v_mul_f16_sdwa v4, v4, v74 dst_sel:DWORD dst_unused:UNUSED_PAD src0_sel:DWORD src1_sel:WORD_1
	v_fma_f16 v2, v2, v74, -v4
	v_lshrrev_b32_e32 v4, 16, v1
	v_pack_b32_f16 v2, v2, v50
	v_mul_f16_sdwa v50, v4, v72 dst_sel:DWORD dst_unused:UNUSED_PAD src0_sel:DWORD src1_sel:WORD_1
	v_fma_f16 v50, v1, v72, -v50
	v_mul_f16_sdwa v1, v1, v72 dst_sel:DWORD dst_unused:UNUSED_PAD src0_sel:DWORD src1_sel:WORD_1
	v_fma_f16 v1, v4, v72, v1
	v_pack_b32_f16 v1, v50, v1
	v_lshrrev_b32_e32 v4, 16, v3
	ds_write2st64_b32 v83, v0, v1 offset0:192 offset1:200
	v_mul_f16_sdwa v0, v4, v53 dst_sel:DWORD dst_unused:UNUSED_PAD src0_sel:DWORD src1_sel:WORD_1
	v_fma_f16 v50, v3, v53, -v0
	ds_read2st64_b32 v[0:1], v83 offset0:16 offset1:24
	v_mul_f16_sdwa v3, v3, v53 dst_sel:DWORD dst_unused:UNUSED_PAD src0_sel:DWORD src1_sel:WORD_1
	v_fma_f16 v3, v4, v53, v3
	v_pack_b32_f16 v3, v50, v3
	ds_write2st64_b32 v83, v2, v3 offset0:224 offset1:232
	global_load_dword v50, v62, s[6:7]
	s_nop 0
	global_load_dword v57, v57, s[6:7]
	s_nop 0
	global_load_dword v62, v67, s[6:7]
	global_load_dword v70, v68, s[6:7]
	ds_read2st64_b32 v[2:3], v83 offset0:48 offset1:56
	s_waitcnt lgkmcnt(2)
	v_lshrrev_b32_e32 v4, 16, v0
	s_waitcnt vmcnt(7)
	v_mul_f16_sdwa v53, v4, v54 dst_sel:DWORD dst_unused:UNUSED_PAD src0_sel:DWORD src1_sel:WORD_1
	v_fma_f16 v53, v0, v54, -v53
	v_mul_f16_sdwa v0, v0, v54 dst_sel:DWORD dst_unused:UNUSED_PAD src0_sel:DWORD src1_sel:WORD_1
	v_fma_f16 v0, v4, v54, v0
	v_pack_b32_f16 v4, v53, v0
	s_waitcnt lgkmcnt(0)
	v_lshrrev_b32_e32 v0, 16, v2
	ds_read2st64_b32 v[53:54], v83 offset0:80 offset1:88
	s_waitcnt vmcnt(6)
	v_mul_f16_sdwa v67, v0, v55 dst_sel:DWORD dst_unused:UNUSED_PAD src0_sel:DWORD src1_sel:WORD_1
	v_fma_f16 v67, v2, v55, -v67
	v_mul_f16_sdwa v2, v2, v55 dst_sel:DWORD dst_unused:UNUSED_PAD src0_sel:DWORD src1_sel:WORD_1
	v_fma_f16 v0, v0, v55, v2
	v_pack_b32_f16 v55, v67, v0
	ds_read2st64_b32 v[67:68], v83 offset0:112 offset1:120
	s_waitcnt lgkmcnt(1)
	v_lshrrev_b32_e32 v0, 16, v53
	s_waitcnt vmcnt(5)
	v_mul_f16_sdwa v2, v0, v60 dst_sel:DWORD dst_unused:UNUSED_PAD src0_sel:DWORD src1_sel:WORD_1
	v_fma_f16 v2, v53, v60, -v2
	v_mul_f16_sdwa v53, v53, v60 dst_sel:DWORD dst_unused:UNUSED_PAD src0_sel:DWORD src1_sel:WORD_1
	v_fma_f16 v0, v0, v60, v53
	v_pack_b32_f16 v53, v2, v0
	s_waitcnt lgkmcnt(0)
	v_lshrrev_b32_e32 v0, 16, v67
	s_waitcnt vmcnt(4)
	v_mul_f16_sdwa v2, v67, v69 dst_sel:DWORD dst_unused:UNUSED_PAD src0_sel:DWORD src1_sel:WORD_1
	v_fma_f16 v2, v0, v69, v2
	v_mul_f16_sdwa v0, v0, v69 dst_sel:DWORD dst_unused:UNUSED_PAD src0_sel:DWORD src1_sel:WORD_1
	v_fma_f16 v0, v67, v69, -v0
	global_load_dword v56, v56, s[6:7]
	s_nop 0
	global_load_dword v58, v58, s[6:7]
	s_nop 0
	;; [unrolled: 2-line block ×4, first 2 shown]
	global_load_dword v67, v52, s[6:7]
	global_load_dword v71, v91, s[6:7]
	;; [unrolled: 1-line block ×3, first 2 shown]
	s_nop 0
	global_load_dword v59, v59, s[6:7]
	v_pack_b32_f16 v69, v0, v2
	v_lshrrev_b32_e32 v0, 16, v1
	s_waitcnt vmcnt(7)
	v_mul_f16_sdwa v2, v0, v56 dst_sel:DWORD dst_unused:UNUSED_PAD src0_sel:DWORD src1_sel:WORD_1
	v_fma_f16 v2, v1, v56, -v2
	v_mul_f16_sdwa v1, v1, v56 dst_sel:DWORD dst_unused:UNUSED_PAD src0_sel:DWORD src1_sel:WORD_1
	v_fma_f16 v51, v0, v56, v1
	ds_read2st64_b32 v[0:1], v83 offset0:144 offset1:152
	v_pack_b32_f16 v2, v2, v51
	ds_write2st64_b32 v83, v4, v2 offset0:16 offset1:24
	s_waitcnt lgkmcnt(1)
	v_lshrrev_b32_e32 v52, 16, v0
	v_mul_f16_sdwa v56, v0, v50 dst_sel:DWORD dst_unused:UNUSED_PAD src0_sel:DWORD src1_sel:WORD_1
	v_fma_f16 v56, v52, v50, v56
	v_mul_f16_sdwa v52, v52, v50 dst_sel:DWORD dst_unused:UNUSED_PAD src0_sel:DWORD src1_sel:WORD_1
	v_fma_f16 v0, v0, v50, -v52
	ds_read2st64_b32 v[51:52], v83 offset0:176 offset1:184
	v_pack_b32_f16 v0, v0, v56
	s_waitcnt lgkmcnt(0)
	v_lshrrev_b32_e32 v2, 16, v51
	v_mul_f16_sdwa v4, v51, v57 dst_sel:DWORD dst_unused:UNUSED_PAD src0_sel:DWORD src1_sel:WORD_1
	v_fma_f16 v4, v2, v57, v4
	v_mul_f16_sdwa v2, v2, v57 dst_sel:DWORD dst_unused:UNUSED_PAD src0_sel:DWORD src1_sel:WORD_1
	v_fma_f16 v2, v51, v57, -v2
	v_pack_b32_f16 v4, v2, v4
	v_lshrrev_b32_e32 v2, 16, v3
	s_waitcnt vmcnt(6)
	v_mul_f16_sdwa v50, v2, v58 dst_sel:DWORD dst_unused:UNUSED_PAD src0_sel:DWORD src1_sel:WORD_1
	v_fma_f16 v50, v3, v58, -v50
	v_mul_f16_sdwa v3, v3, v58 dst_sel:DWORD dst_unused:UNUSED_PAD src0_sel:DWORD src1_sel:WORD_1
	v_fma_f16 v51, v2, v58, v3
	ds_read2st64_b32 v[2:3], v83 offset0:208 offset1:216
	v_pack_b32_f16 v50, v50, v51
	ds_write2st64_b32 v83, v55, v50 offset0:48 offset1:56
	s_waitcnt lgkmcnt(1)
	v_lshrrev_b32_e32 v56, 16, v2
	v_mul_f16_sdwa v57, v2, v62 dst_sel:DWORD dst_unused:UNUSED_PAD src0_sel:DWORD src1_sel:WORD_1
	v_fma_f16 v57, v56, v62, v57
	v_mul_f16_sdwa v56, v56, v62 dst_sel:DWORD dst_unused:UNUSED_PAD src0_sel:DWORD src1_sel:WORD_1
	v_fma_f16 v2, v2, v62, -v56
	ds_read2st64_b32 v[55:56], v83 offset0:240 offset1:248
	v_pack_b32_f16 v2, v2, v57
	s_waitcnt lgkmcnt(0)
	v_lshrrev_b32_e32 v50, 16, v55
	v_mul_f16_sdwa v51, v55, v70 dst_sel:DWORD dst_unused:UNUSED_PAD src0_sel:DWORD src1_sel:WORD_1
	v_fma_f16 v51, v50, v70, v51
	v_mul_f16_sdwa v50, v50, v70 dst_sel:DWORD dst_unused:UNUSED_PAD src0_sel:DWORD src1_sel:WORD_1
	v_fma_f16 v50, v55, v70, -v50
	v_pack_b32_f16 v50, v50, v51
	v_lshrrev_b32_e32 v51, 16, v54
	s_waitcnt vmcnt(5)
	v_mul_f16_sdwa v55, v51, v60 dst_sel:DWORD dst_unused:UNUSED_PAD src0_sel:DWORD src1_sel:WORD_1
	v_fma_f16 v55, v54, v60, -v55
	v_mul_f16_sdwa v54, v54, v60 dst_sel:DWORD dst_unused:UNUSED_PAD src0_sel:DWORD src1_sel:WORD_1
	v_fma_f16 v51, v51, v60, v54
	v_pack_b32_f16 v51, v55, v51
	ds_write2st64_b32 v83, v53, v51 offset0:80 offset1:88
	v_lshrrev_b32_e32 v51, 16, v68
	s_waitcnt vmcnt(4)
	v_mul_f16_sdwa v53, v51, v61 dst_sel:DWORD dst_unused:UNUSED_PAD src0_sel:DWORD src1_sel:WORD_1
	v_mul_f16_sdwa v54, v68, v61 dst_sel:DWORD dst_unused:UNUSED_PAD src0_sel:DWORD src1_sel:WORD_1
	v_fma_f16 v53, v68, v61, -v53
	v_fma_f16 v51, v51, v61, v54
	v_pack_b32_f16 v51, v53, v51
	ds_write2st64_b32 v83, v69, v51 offset0:112 offset1:120
	v_lshrrev_b32_e32 v51, 16, v1
	s_waitcnt vmcnt(3)
	v_mul_f16_sdwa v53, v51, v67 dst_sel:DWORD dst_unused:UNUSED_PAD src0_sel:DWORD src1_sel:WORD_1
	v_fma_f16 v53, v1, v67, -v53
	v_mul_f16_sdwa v1, v1, v67 dst_sel:DWORD dst_unused:UNUSED_PAD src0_sel:DWORD src1_sel:WORD_1
	v_fma_f16 v1, v51, v67, v1
	v_pack_b32_f16 v1, v53, v1
	ds_write2st64_b32 v83, v0, v1 offset0:144 offset1:152
	v_lshrrev_b32_e32 v0, 16, v52
	s_waitcnt vmcnt(2)
	v_mul_f16_sdwa v1, v0, v71 dst_sel:DWORD dst_unused:UNUSED_PAD src0_sel:DWORD src1_sel:WORD_1
	v_mul_f16_sdwa v51, v52, v71 dst_sel:DWORD dst_unused:UNUSED_PAD src0_sel:DWORD src1_sel:WORD_1
	v_fma_f16 v1, v52, v71, -v1
	v_fma_f16 v0, v0, v71, v51
	v_pack_b32_f16 v0, v1, v0
	ds_write2st64_b32 v83, v4, v0 offset0:176 offset1:184
	;; [unrolled: 16-line block ×3, first 2 shown]
	s_waitcnt lgkmcnt(0)
	s_barrier
	ds_read2st64_b32 v[71:72], v83 offset1:8
	ds_read2st64_b32 v[69:70], v83 offset0:32 offset1:40
	ds_read2st64_b32 v[73:74], v83 offset0:64 offset1:72
	;; [unrolled: 1-line block ×7, first 2 shown]
	s_waitcnt lgkmcnt(7)
	v_lshrrev_b32_e32 v0, 16, v72
	s_waitcnt lgkmcnt(5)
	v_lshrrev_b32_e32 v2, 16, v74
	s_waitcnt lgkmcnt(3)
	v_sub_f16_sdwa v50, v0, v80 dst_sel:DWORD dst_unused:UNUSED_PAD src0_sel:DWORD src1_sel:WORD_1
	s_waitcnt lgkmcnt(1)
	v_sub_f16_e32 v54, v74, v82
	v_lshrrev_b32_e32 v3, 16, v68
	v_fma_f16 v51, v0, 2.0, -v50
	v_sub_f16_sdwa v0, v2, v82 dst_sel:DWORD dst_unused:UNUSED_PAD src0_sel:DWORD src1_sel:WORD_1
	v_sub_f16_e32 v82, v50, v54
	v_lshrrev_b32_e32 v1, 16, v70
	v_sub_f16_e32 v4, v72, v80
	s_waitcnt lgkmcnt(0)
	v_sub_f16_sdwa v53, v3, v78 dst_sel:DWORD dst_unused:UNUSED_PAD src0_sel:DWORD src1_sel:WORD_1
	v_fma_f16 v80, v50, 2.0, -v82
	v_sub_f16_e32 v50, v70, v76
	v_fma_f16 v2, v2, 2.0, -v0
	v_sub_f16_sdwa v52, v1, v76 dst_sel:DWORD dst_unused:UNUSED_PAD src0_sel:DWORD src1_sel:WORD_1
	v_fma_f16 v3, v3, 2.0, -v53
	v_add_f16_e32 v0, v4, v0
	v_add_f16_e32 v53, v50, v53
	v_sub_f16_e32 v55, v68, v78
	v_sub_f16_e32 v56, v52, v55
	v_fma_f16 v76, v4, 2.0, -v0
	v_fma_f16 v57, v50, 2.0, -v53
	;; [unrolled: 1-line block ×4, first 2 shown]
	v_fma_f16 v58, v57, s8, v76
	v_fma_f16 v84, v52, s9, v58
	;; [unrolled: 1-line block ×8, first 2 shown]
	v_fma_f16 v4, v72, 2.0, -v4
	v_fma_f16 v52, v74, 2.0, -v54
	;; [unrolled: 1-line block ×4, first 2 shown]
	v_sub_f16_e32 v125, v4, v52
	v_sub_f16_e32 v87, v51, v2
	;; [unrolled: 1-line block ×4, first 2 shown]
	v_fma_f16 v70, v4, 2.0, -v125
	v_fma_f16 v68, v51, 2.0, -v87
	;; [unrolled: 1-line block ×4, first 2 shown]
	v_sub_f16_e32 v74, v70, v4
	v_sub_f16_e32 v72, v68, v1
	v_add_f16_e32 v50, v125, v3
	v_sub_f16_e32 v88, v87, v2
	v_pack_b32_f16 v123, v78, v86
	v_pack_b32_f16 v122, v50, v88
	;; [unrolled: 1-line block ×4, first 2 shown]
	ds_read2st64_b32 v[61:62], v83 offset0:16 offset1:24
	ds_read2st64_b32 v[53:54], v83 offset0:48 offset1:56
	;; [unrolled: 1-line block ×8, first 2 shown]
	s_waitcnt lgkmcnt(0)
	s_barrier
	ds_write_b128 v92, v[120:123] offset:16
	v_lshrrev_b32_e32 v120, 16, v71
	v_lshrrev_b32_e32 v122, 16, v73
	;; [unrolled: 1-line block ×3, first 2 shown]
	v_sub_f16_e32 v121, v71, v79
	v_sub_f16_sdwa v79, v120, v79 dst_sel:DWORD dst_unused:UNUSED_PAD src0_sel:DWORD src1_sel:WORD_1
	v_sub_f16_e32 v123, v73, v81
	v_sub_f16_sdwa v81, v122, v81 dst_sel:DWORD dst_unused:UNUSED_PAD src0_sel:DWORD src1_sel:WORD_1
	v_lshrrev_b32_e32 v89, 16, v69
	v_sub_f16_e32 v90, v69, v75
	v_sub_f16_e32 v92, v67, v77
	v_sub_f16_sdwa v77, v91, v77 dst_sel:DWORD dst_unused:UNUSED_PAD src0_sel:DWORD src1_sel:WORD_1
	v_sub_f16_sdwa v75, v89, v75 dst_sel:DWORD dst_unused:UNUSED_PAD src0_sel:DWORD src1_sel:WORD_1
	v_fma_f16 v120, v120, 2.0, -v79
	v_fma_f16 v122, v122, 2.0, -v81
	v_fma_f16 v91, v91, 2.0, -v77
	v_add_f16_e32 v81, v121, v81
	v_add_f16_e32 v77, v90, v77
	v_fma_f16 v67, v67, 2.0, -v92
	v_sub_f16_e32 v93, v120, v122
	v_sub_f16_e32 v94, v79, v123
	;; [unrolled: 1-line block ×3, first 2 shown]
	v_fma_f16 v122, v77, s9, v81
	v_fma_f16 v71, v71, 2.0, -v121
	v_fma_f16 v73, v73, 2.0, -v123
	;; [unrolled: 1-line block ×3, first 2 shown]
	v_fma_f16 v95, v92, s9, v122
	v_fma_f16 v122, v92, s9, v94
	v_fma_f16 v69, v69, 2.0, -v90
	v_sub_f16_e32 v73, v71, v73
	v_sub_f16_e32 v91, v89, v91
	v_fma_f16 v96, v77, s8, v122
	v_fma_f16 v123, v81, 2.0, -v95
	v_fma_f16 v81, v121, 2.0, -v81
	;; [unrolled: 1-line block ×3, first 2 shown]
	v_sub_f16_e32 v67, v69, v67
	v_add_f16_e32 v97, v73, v91
	v_fma_f16 v79, v79, 2.0, -v94
	v_fma_f16 v75, v75, 2.0, -v92
	v_fma_f16 v90, v77, s8, v81
	v_sub_f16_e32 v98, v93, v67
	v_fma_f16 v122, v73, 2.0, -v97
	v_fma_f16 v90, v75, s9, v90
	v_fma_f16 v75, v75, s8, v79
	v_fma_f16 v71, v71, 2.0, -v73
	v_fma_f16 v73, v120, 2.0, -v93
	;; [unrolled: 1-line block ×4, first 2 shown]
	v_fma_f16 v75, v77, s8, v75
	v_sub_f16_e32 v67, v71, v67
	v_sub_f16_e32 v69, v73, v69
	v_fma_f16 v99, v93, 2.0, -v98
	v_fma_f16 v119, v94, 2.0, -v96
	;; [unrolled: 1-line block ×6, first 2 shown]
	v_pack_b32_f16 v123, v123, v119
	v_pack_b32_f16 v122, v122, v99
	;; [unrolled: 1-line block ×4, first 2 shown]
	ds_write_b128 v117, v[120:123]
	v_pack_b32_f16 v120, v67, v69
	v_fma_f16 v50, v125, 2.0, -v50
	v_fma_f16 v67, v87, 2.0, -v88
	v_fma_f16 v0, v0, 2.0, -v78
	v_fma_f16 v69, v82, 2.0, -v86
	v_pack_b32_f16 v78, v0, v69
	v_pack_b32_f16 v77, v50, v67
	v_fma_f16 v0, v76, 2.0, -v84
	v_fma_f16 v50, v80, 2.0, -v85
	v_pack_b32_f16 v76, v0, v50
	v_lshrrev_b32_e32 v0, 16, v61
	v_lshrrev_b32_e32 v50, 16, v53
	v_fma_f16 v67, v70, 2.0, -v74
	v_lshrrev_b32_e32 v69, 16, v57
	v_fma_f16 v68, v68, 2.0, -v72
	v_lshrrev_b32_e32 v70, 16, v51
	v_pack_b32_f16 v121, v90, v75
	v_pack_b32_f16 v75, v67, v68
	v_sub_f16_e32 v67, v61, v3
	v_sub_f16_sdwa v3, v0, v3 dst_sel:DWORD dst_unused:UNUSED_PAD src0_sel:DWORD src1_sel:WORD_1
	v_sub_f16_sdwa v68, v69, v1 dst_sel:DWORD dst_unused:UNUSED_PAD src0_sel:DWORD src1_sel:WORD_1
	;; [unrolled: 1-line block ×4, first 2 shown]
	v_sub_f16_e32 v59, v53, v59
	v_fma_f16 v0, v0, 2.0, -v3
	v_fma_f16 v69, v69, 2.0, -v68
	;; [unrolled: 1-line block ×3, first 2 shown]
	v_sub_f16_e32 v1, v57, v1
	v_add_f16_e32 v68, v67, v68
	v_sub_f16_e32 v55, v51, v55
	v_add_f16_e32 v72, v59, v72
	v_fma_f16 v57, v57, 2.0, -v1
	v_sub_f16_e32 v73, v0, v69
	v_sub_f16_e32 v1, v3, v1
	v_fma_f16 v51, v51, 2.0, -v55
	v_sub_f16_e32 v55, v71, v55
	v_fma_f16 v69, v72, s9, v68
	ds_write_b128 v117, v[75:78] offset:16384
	v_fma_f16 v75, v55, s9, v69
	v_fma_f16 v69, v55, s9, v1
	;; [unrolled: 1-line block ×3, first 2 shown]
	v_fma_f16 v61, v61, 2.0, -v67
	v_fma_f16 v80, v1, 2.0, -v76
	;; [unrolled: 1-line block ×7, first 2 shown]
	v_fma_f16 v59, v3, s8, v67
	v_fma_f16 v59, v55, s9, v59
	;; [unrolled: 1-line block ×3, first 2 shown]
	v_fma_f16 v50, v50, 2.0, -v71
	v_fma_f16 v3, v3, s8, v55
	v_sub_f16_e32 v57, v61, v57
	v_sub_f16_e32 v51, v53, v51
	;; [unrolled: 1-line block ×3, first 2 shown]
	v_fma_f16 v55, v67, 2.0, -v59
	v_fma_f16 v1, v1, 2.0, -v3
	v_sub_f16_e32 v78, v73, v51
	v_fma_f16 v70, v68, 2.0, -v75
	v_pack_b32_f16 v68, v55, v1
	v_fma_f16 v1, v61, 2.0, -v57
	v_fma_f16 v0, v0, 2.0, -v73
	;; [unrolled: 1-line block ×4, first 2 shown]
	v_add_f16_e32 v77, v57, v74
	v_sub_f16_e32 v51, v1, v51
	v_sub_f16_e32 v50, v0, v50
	v_fma_f16 v69, v57, 2.0, -v77
	v_fma_f16 v79, v73, 2.0, -v78
	;; [unrolled: 1-line block ×4, first 2 shown]
	v_pack_b32_f16 v70, v70, v80
	v_pack_b32_f16 v69, v69, v79
	;; [unrolled: 1-line block ×3, first 2 shown]
	v_lshrrev_b32_e32 v0, 16, v62
	v_sub_f16_e32 v1, v62, v4
	v_lshrrev_b32_e32 v61, 16, v54
	ds_write_b128 v117, v[67:70] offset:32768
	v_sub_f16_sdwa v4, v0, v4 dst_sel:DWORD dst_unused:UNUSED_PAD src0_sel:DWORD src1_sel:WORD_1
	v_lshrrev_b32_e32 v53, 16, v58
	v_fma_f16 v55, v62, 2.0, -v1
	v_sub_f16_e32 v57, v58, v2
	v_sub_f16_e32 v62, v54, v60
	v_sub_f16_sdwa v60, v61, v60 dst_sel:DWORD dst_unused:UNUSED_PAD src0_sel:DWORD src1_sel:WORD_1
	v_lshrrev_b32_e32 v67, 16, v52
	v_sub_f16_e32 v68, v52, v56
	v_sub_f16_sdwa v2, v53, v2 dst_sel:DWORD dst_unused:UNUSED_PAD src0_sel:DWORD src1_sel:WORD_1
	v_fma_f16 v58, v58, 2.0, -v57
	v_fma_f16 v54, v54, 2.0, -v62
	v_sub_f16_sdwa v56, v67, v56 dst_sel:DWORD dst_unused:UNUSED_PAD src0_sel:DWORD src1_sel:WORD_1
	v_fma_f16 v52, v52, 2.0, -v68
	v_sub_f16_e32 v57, v4, v57
	v_sub_f16_e32 v68, v60, v68
	v_fma_f16 v0, v0, 2.0, -v4
	v_fma_f16 v53, v53, 2.0, -v2
	;; [unrolled: 1-line block ×4, first 2 shown]
	v_sub_f16_e32 v58, v55, v58
	v_add_f16_e32 v2, v1, v2
	v_fma_f16 v4, v4, 2.0, -v57
	v_sub_f16_e32 v52, v54, v52
	v_add_f16_e32 v56, v62, v56
	v_fma_f16 v60, v60, 2.0, -v68
	v_sub_f16_e32 v53, v0, v53
	v_fma_f16 v55, v55, 2.0, -v58
	v_fma_f16 v1, v1, 2.0, -v2
	;; [unrolled: 1-line block ×4, first 2 shown]
	v_fma_f16 v70, v60, s8, v4
	v_sub_f16_e32 v69, v55, v54
	v_fma_f16 v54, v62, s8, v1
	v_fma_f16 v62, v62, s8, v70
	v_sub_f16_e32 v70, v53, v52
	v_fma_f16 v52, v56, s9, v2
	v_fma_f16 v0, v0, 2.0, -v53
	v_fma_f16 v71, v53, 2.0, -v70
	v_fma_f16 v53, v68, s9, v57
	v_fma_f16 v68, v68, s9, v52
	v_pack_b32_f16 v52, v59, v3
	buffer_load_dword v3, off, s[20:23], 0 offset:88 ; 4-byte Folded Reload
	v_sub_f16_e32 v67, v61, v67
	v_fma_f16 v61, v61, 2.0, -v67
	v_sub_f16_e32 v61, v0, v61
	v_fma_f16 v55, v55, 2.0, -v69
	v_fma_f16 v0, v0, 2.0, -v61
	v_fma_f16 v60, v60, s9, v54
	v_fma_f16 v56, v56, s8, v53
	v_pack_b32_f16 v54, v75, v76
	v_pack_b32_f16 v53, v77, v78
	;; [unrolled: 1-line block ×3, first 2 shown]
	v_add_f16_e32 v67, v58, v67
	v_fma_f16 v1, v1, 2.0, -v60
	v_fma_f16 v4, v4, 2.0, -v62
	;; [unrolled: 1-line block ×5, first 2 shown]
	v_pack_b32_f16 v123, v95, v96
	v_pack_b32_f16 v122, v97, v98
	ds_write_b128 v117, v[120:123] offset:16
	s_waitcnt vmcnt(0)
	ds_write_b128 v3, v[51:54] offset:16
	v_pack_b32_f16 v51, v55, v0
	buffer_load_dword v0, off, s[20:23], 0 offset:76 ; 4-byte Folded Reload
	v_pack_b32_f16 v54, v2, v57
	v_pack_b32_f16 v53, v58, v71
	;; [unrolled: 1-line block ×3, first 2 shown]
	ds_write_b128 v117, v[51:54] offset:49152
	v_pack_b32_f16 v54, v68, v56
	v_pack_b32_f16 v53, v67, v70
	;; [unrolled: 1-line block ×4, first 2 shown]
	s_waitcnt vmcnt(0)
	ds_write_b128 v0, v[51:54] offset:16
	s_waitcnt lgkmcnt(0)
	s_barrier
	ds_read2st64_b32 v[0:1], v83 offset0:16 offset1:24
	ds_read2st64_b32 v[2:3], v83 offset0:32 offset1:40
	ds_read2st64_b32 v[53:54], v83 offset0:48 offset1:56
	ds_read2st64_b32 v[55:56], v83 offset0:64 offset1:72
	ds_read2st64_b32 v[57:58], v83 offset0:80 offset1:88
	ds_read2st64_b32 v[59:60], v83 offset0:96 offset1:104
	ds_read2st64_b32 v[61:62], v83 offset0:112 offset1:120
	s_waitcnt lgkmcnt(4)
	v_lshrrev_b32_e32 v69, 16, v53
	v_lshrrev_b32_e32 v77, 16, v54
	v_lshrrev_b32_e32 v4, 16, v0
	v_mul_f16_sdwa v51, v9, v4 dst_sel:DWORD dst_unused:UNUSED_PAD src0_sel:WORD_1 src1_sel:DWORD
	v_lshrrev_b32_e32 v52, 16, v1
	v_fma_f16 v73, v9, v0, v51
	v_mul_f16_sdwa v0, v9, v0 dst_sel:DWORD dst_unused:UNUSED_PAD src0_sel:WORD_1 src1_sel:DWORD
	v_fma_f16 v75, v9, v4, -v0
	v_mul_f16_sdwa v0, v9, v52 dst_sel:DWORD dst_unused:UNUSED_PAD src0_sel:WORD_1 src1_sel:DWORD
	v_lshrrev_b32_e32 v50, 16, v2
	v_fma_f16 v51, v9, v1, v0
	v_mul_f16_sdwa v0, v9, v1 dst_sel:DWORD dst_unused:UNUSED_PAD src0_sel:WORD_1 src1_sel:DWORD
	v_mul_f16_sdwa v1, v10, v2 dst_sel:DWORD dst_unused:UNUSED_PAD src0_sel:WORD_1 src1_sel:DWORD
	v_lshrrev_b32_e32 v76, 16, v3
	v_fma_f16 v79, v10, v50, -v1
	v_mul_f16_sdwa v1, v10, v50 dst_sel:DWORD dst_unused:UNUSED_PAD src0_sel:WORD_1 src1_sel:DWORD
	v_fma_f16 v50, v10, v2, v1
	v_fma_f16 v9, v9, v52, -v0
	v_mul_f16_sdwa v0, v10, v76 dst_sel:DWORD dst_unused:UNUSED_PAD src0_sel:WORD_1 src1_sel:DWORD
	v_mul_f16_sdwa v1, v11, v53 dst_sel:DWORD dst_unused:UNUSED_PAD src0_sel:WORD_1 src1_sel:DWORD
	v_fma_f16 v52, v10, v3, v0
	v_mul_f16_sdwa v0, v10, v3 dst_sel:DWORD dst_unused:UNUSED_PAD src0_sel:WORD_1 src1_sel:DWORD
	v_fma_f16 v80, v11, v69, -v1
	v_mul_f16_sdwa v1, v11, v69 dst_sel:DWORD dst_unused:UNUSED_PAD src0_sel:WORD_1 src1_sel:DWORD
	v_fma_f16 v81, v11, v53, v1
	v_fma_f16 v53, v10, v76, -v0
	v_mul_f16_sdwa v0, v11, v77 dst_sel:DWORD dst_unused:UNUSED_PAD src0_sel:WORD_1 src1_sel:DWORD
	s_waitcnt lgkmcnt(3)
	v_lshrrev_b32_e32 v78, 16, v56
	v_fma_f16 v10, v11, v54, v0
	v_mul_f16_sdwa v0, v11, v54 dst_sel:DWORD dst_unused:UNUSED_PAD src0_sel:WORD_1 src1_sel:DWORD
	v_lshrrev_b32_e32 v70, 16, v55
	s_waitcnt lgkmcnt(2)
	v_lshrrev_b32_e32 v71, 16, v57
	v_mul_f16_sdwa v1, v12, v55 dst_sel:DWORD dst_unused:UNUSED_PAD src0_sel:WORD_1 src1_sel:DWORD
	v_fma_f16 v11, v11, v77, -v0
	v_mul_f16_sdwa v0, v12, v78 dst_sel:DWORD dst_unused:UNUSED_PAD src0_sel:WORD_1 src1_sel:DWORD
	v_fma_f16 v76, v12, v70, -v1
	v_mul_f16_sdwa v1, v12, v70 dst_sel:DWORD dst_unused:UNUSED_PAD src0_sel:WORD_1 src1_sel:DWORD
	v_fma_f16 v54, v12, v56, v0
	v_mul_f16_sdwa v0, v12, v56 dst_sel:DWORD dst_unused:UNUSED_PAD src0_sel:WORD_1 src1_sel:DWORD
	v_mul_f16_sdwa v4, v5, v71 dst_sel:DWORD dst_unused:UNUSED_PAD src0_sel:WORD_1 src1_sel:DWORD
	v_fma_f16 v82, v12, v55, v1
	v_fma_f16 v55, v12, v78, -v0
	v_lshrrev_b32_e32 v0, 16, v58
	v_fma_f16 v77, v5, v57, v4
	v_mul_f16_sdwa v4, v5, v57 dst_sel:DWORD dst_unused:UNUSED_PAD src0_sel:WORD_1 src1_sel:DWORD
	v_fma_f16 v78, v5, v71, -v4
	v_mul_f16_sdwa v4, v5, v0 dst_sel:DWORD dst_unused:UNUSED_PAD src0_sel:WORD_1 src1_sel:DWORD
	s_waitcnt lgkmcnt(1)
	v_lshrrev_b32_e32 v72, 16, v59
	ds_read2st64_b32 v[67:68], v83 offset0:128 offset1:136
	v_lshrrev_b32_e32 v2, 16, v60
	v_fma_f16 v12, v5, v58, v4
	v_mul_f16_sdwa v4, v5, v58 dst_sel:DWORD dst_unused:UNUSED_PAD src0_sel:WORD_1 src1_sel:DWORD
	v_mul_f16_sdwa v56, v6, v59 dst_sel:DWORD dst_unused:UNUSED_PAD src0_sel:WORD_1 src1_sel:DWORD
	v_fma_f16 v71, v6, v72, -v56
	v_mul_f16_sdwa v56, v6, v72 dst_sel:DWORD dst_unused:UNUSED_PAD src0_sel:WORD_1 src1_sel:DWORD
	v_fma_f16 v5, v5, v0, -v4
	v_mul_f16_sdwa v0, v6, v2 dst_sel:DWORD dst_unused:UNUSED_PAD src0_sel:WORD_1 src1_sel:DWORD
	s_waitcnt lgkmcnt(1)
	v_lshrrev_b32_e32 v3, 16, v62
	v_fma_f16 v72, v6, v59, v56
	v_fma_f16 v56, v6, v60, v0
	v_mul_f16_sdwa v0, v6, v60 dst_sel:DWORD dst_unused:UNUSED_PAD src0_sel:WORD_1 src1_sel:DWORD
	v_lshrrev_b32_e32 v74, 16, v61
	v_mul_f16_sdwa v4, v7, v61 dst_sel:DWORD dst_unused:UNUSED_PAD src0_sel:WORD_1 src1_sel:DWORD
	v_fma_f16 v57, v6, v2, -v0
	v_mul_f16_sdwa v0, v7, v3 dst_sel:DWORD dst_unused:UNUSED_PAD src0_sel:WORD_1 src1_sel:DWORD
	v_fma_f16 v84, v7, v74, -v4
	v_mul_f16_sdwa v4, v7, v74 dst_sel:DWORD dst_unused:UNUSED_PAD src0_sel:WORD_1 src1_sel:DWORD
	v_fma_f16 v6, v7, v62, v0
	v_mul_f16_sdwa v0, v7, v62 dst_sel:DWORD dst_unused:UNUSED_PAD src0_sel:WORD_1 src1_sel:DWORD
	s_waitcnt lgkmcnt(0)
	v_lshrrev_b32_e32 v1, 16, v67
	v_fma_f16 v85, v7, v61, v4
	v_fma_f16 v7, v7, v3, -v0
	v_mul_f16_sdwa v0, v8, v67 dst_sel:DWORD dst_unused:UNUSED_PAD src0_sel:WORD_1 src1_sel:DWORD
	v_lshrrev_b32_e32 v2, 16, v68
	v_fma_f16 v74, v8, v1, -v0
	v_mul_f16_sdwa v0, v8, v1 dst_sel:DWORD dst_unused:UNUSED_PAD src0_sel:WORD_1 src1_sel:DWORD
	v_fma_f16 v67, v8, v67, v0
	v_mul_f16_sdwa v0, v8, v2 dst_sel:DWORD dst_unused:UNUSED_PAD src0_sel:WORD_1 src1_sel:DWORD
	v_fma_f16 v61, v8, v68, v0
	v_mul_f16_sdwa v0, v8, v68 dst_sel:DWORD dst_unused:UNUSED_PAD src0_sel:WORD_1 src1_sel:DWORD
	v_fma_f16 v60, v8, v2, -v0
	ds_read2st64_b32 v[0:1], v83 offset0:144 offset1:152
	s_waitcnt lgkmcnt(0)
	v_lshrrev_b32_e32 v2, 16, v0
	v_mul_f16_sdwa v4, v63, v0 dst_sel:DWORD dst_unused:UNUSED_PAD src0_sel:WORD_1 src1_sel:DWORD
	v_lshrrev_b32_e32 v3, 16, v1
	v_fma_f16 v86, v63, v2, -v4
	v_mul_f16_sdwa v2, v63, v2 dst_sel:DWORD dst_unused:UNUSED_PAD src0_sel:WORD_1 src1_sel:DWORD
	v_fma_f16 v87, v63, v0, v2
	v_mul_f16_sdwa v0, v63, v3 dst_sel:DWORD dst_unused:UNUSED_PAD src0_sel:WORD_1 src1_sel:DWORD
	v_fma_f16 v8, v63, v1, v0
	v_mul_f16_sdwa v0, v63, v1 dst_sel:DWORD dst_unused:UNUSED_PAD src0_sel:WORD_1 src1_sel:DWORD
	v_fma_f16 v58, v63, v3, -v0
	ds_read2st64_b32 v[0:1], v83 offset0:160 offset1:168
	v_sub_f16_e32 v8, v51, v8
	v_sub_f16_e32 v58, v9, v58
	v_fma_f16 v51, v51, 2.0, -v8
	v_fma_f16 v9, v9, 2.0, -v58
	s_waitcnt lgkmcnt(0)
	v_lshrrev_b32_e32 v2, 16, v0
	v_mul_f16_sdwa v3, v64, v0 dst_sel:DWORD dst_unused:UNUSED_PAD src0_sel:WORD_1 src1_sel:DWORD
	v_fma_f16 v68, v64, v2, -v3
	v_mul_f16_sdwa v2, v64, v2 dst_sel:DWORD dst_unused:UNUSED_PAD src0_sel:WORD_1 src1_sel:DWORD
	v_fma_f16 v88, v64, v0, v2
	v_lshrrev_b32_e32 v0, 16, v1
	v_mul_f16_sdwa v2, v64, v0 dst_sel:DWORD dst_unused:UNUSED_PAD src0_sel:WORD_1 src1_sel:DWORD
	v_fma_f16 v62, v64, v1, v2
	v_mul_f16_sdwa v1, v64, v1 dst_sel:DWORD dst_unused:UNUSED_PAD src0_sel:WORD_1 src1_sel:DWORD
	v_fma_f16 v63, v64, v0, -v1
	ds_read2st64_b32 v[0:1], v83 offset0:176 offset1:184
	v_sub_f16_e32 v68, v79, v68
	v_sub_f16_e32 v62, v52, v62
	;; [unrolled: 1-line block ×3, first 2 shown]
	v_fma_f16 v52, v52, 2.0, -v62
	s_waitcnt lgkmcnt(0)
	v_lshrrev_b32_e32 v2, 16, v0
	v_mul_f16_sdwa v3, v65, v0 dst_sel:DWORD dst_unused:UNUSED_PAD src0_sel:WORD_1 src1_sel:DWORD
	v_fma_f16 v89, v65, v2, -v3
	v_mul_f16_sdwa v2, v65, v2 dst_sel:DWORD dst_unused:UNUSED_PAD src0_sel:WORD_1 src1_sel:DWORD
	v_fma_f16 v90, v65, v0, v2
	v_lshrrev_b32_e32 v0, 16, v1
	v_mul_f16_sdwa v2, v65, v0 dst_sel:DWORD dst_unused:UNUSED_PAD src0_sel:WORD_1 src1_sel:DWORD
	v_fma_f16 v59, v65, v1, v2
	v_mul_f16_sdwa v1, v65, v1 dst_sel:DWORD dst_unused:UNUSED_PAD src0_sel:WORD_1 src1_sel:DWORD
	v_fma_f16 v3, v65, v0, -v1
	ds_read2st64_b32 v[0:1], v83 offset0:192 offset1:200
	v_fma_f16 v53, v53, 2.0, -v63
	v_sub_f16_e32 v59, v10, v59
	v_sub_f16_e32 v3, v11, v3
	v_fma_f16 v10, v10, 2.0, -v59
	s_waitcnt lgkmcnt(0)
	v_lshrrev_b32_e32 v2, 16, v0
	v_mul_f16_sdwa v4, v66, v0 dst_sel:DWORD dst_unused:UNUSED_PAD src0_sel:WORD_1 src1_sel:DWORD
	v_fma_f16 v91, v66, v2, -v4
	v_mul_f16_sdwa v2, v66, v2 dst_sel:DWORD dst_unused:UNUSED_PAD src0_sel:WORD_1 src1_sel:DWORD
	v_fma_f16 v92, v66, v0, v2
	v_lshrrev_b32_e32 v0, 16, v1
	v_mul_f16_sdwa v2, v66, v0 dst_sel:DWORD dst_unused:UNUSED_PAD src0_sel:WORD_1 src1_sel:DWORD
	v_fma_f16 v64, v66, v1, v2
	v_mul_f16_sdwa v1, v66, v1 dst_sel:DWORD dst_unused:UNUSED_PAD src0_sel:WORD_1 src1_sel:DWORD
	v_fma_f16 v65, v66, v0, -v1
	ds_read2st64_b32 v[0:1], v83 offset0:208 offset1:216
	v_sub_f16_e32 v91, v76, v91
	v_fma_f16 v11, v11, 2.0, -v3
	s_waitcnt lgkmcnt(0)
	v_lshrrev_b32_e32 v2, 16, v0
	v_mul_f16_sdwa v4, v17, v0 dst_sel:DWORD dst_unused:UNUSED_PAD src0_sel:WORD_1 src1_sel:DWORD
	v_fma_f16 v93, v17, v2, -v4
	v_mul_f16_sdwa v2, v17, v2 dst_sel:DWORD dst_unused:UNUSED_PAD src0_sel:WORD_1 src1_sel:DWORD
	v_fma_f16 v94, v17, v0, v2
	v_lshrrev_b32_e32 v0, 16, v1
	v_mul_f16_sdwa v2, v17, v0 dst_sel:DWORD dst_unused:UNUSED_PAD src0_sel:WORD_1 src1_sel:DWORD
	v_fma_f16 v4, v17, v1, v2
	v_mul_f16_sdwa v1, v17, v1 dst_sel:DWORD dst_unused:UNUSED_PAD src0_sel:WORD_1 src1_sel:DWORD
	v_fma_f16 v17, v17, v0, -v1
	ds_read2st64_b32 v[0:1], v83 offset0:224 offset1:232
	v_sub_f16_e32 v4, v12, v4
	v_sub_f16_e32 v17, v5, v17
	v_fma_f16 v5, v5, 2.0, -v17
	v_add_f16_e32 v17, v8, v17
	s_waitcnt lgkmcnt(0)
	v_lshrrev_b32_e32 v2, 16, v0
	v_mul_f16_sdwa v66, v18, v0 dst_sel:DWORD dst_unused:UNUSED_PAD src0_sel:WORD_1 src1_sel:DWORD
	v_fma_f16 v66, v18, v2, -v66
	v_mul_f16_sdwa v2, v18, v2 dst_sel:DWORD dst_unused:UNUSED_PAD src0_sel:WORD_1 src1_sel:DWORD
	v_fma_f16 v95, v18, v0, v2
	v_lshrrev_b32_e32 v0, 16, v1
	v_mul_f16_sdwa v2, v18, v0 dst_sel:DWORD dst_unused:UNUSED_PAD src0_sel:WORD_1 src1_sel:DWORD
	v_fma_f16 v69, v18, v1, v2
	v_mul_f16_sdwa v1, v18, v1 dst_sel:DWORD dst_unused:UNUSED_PAD src0_sel:WORD_1 src1_sel:DWORD
	v_fma_f16 v70, v18, v0, -v1
	ds_read2st64_b32 v[0:1], v83 offset0:240 offset1:248
	v_fma_f16 v12, v12, 2.0, -v4
	v_sub_f16_e32 v12, v51, v12
	v_sub_f16_e32 v5, v9, v5
	v_fma_f16 v51, v51, 2.0, -v12
	s_waitcnt lgkmcnt(0)
	v_lshrrev_b32_e32 v2, 16, v0
	v_mul_f16_sdwa v18, v19, v0 dst_sel:DWORD dst_unused:UNUSED_PAD src0_sel:WORD_1 src1_sel:DWORD
	v_fma_f16 v96, v19, v2, -v18
	v_mul_f16_sdwa v2, v19, v2 dst_sel:DWORD dst_unused:UNUSED_PAD src0_sel:WORD_1 src1_sel:DWORD
	v_fma_f16 v0, v19, v0, v2
	v_lshrrev_b32_e32 v2, 16, v1
	v_mul_f16_sdwa v18, v19, v2 dst_sel:DWORD dst_unused:UNUSED_PAD src0_sel:WORD_1 src1_sel:DWORD
	v_fma_f16 v18, v19, v1, v18
	v_mul_f16_sdwa v1, v19, v1 dst_sel:DWORD dst_unused:UNUSED_PAD src0_sel:WORD_1 src1_sel:DWORD
	v_fma_f16 v19, v19, v2, -v1
	ds_read2st64_b32 v[1:2], v83 offset1:8
	v_sub_f16_e32 v0, v85, v0
	v_fma_f16 v85, v85, 2.0, -v0
	s_waitcnt lgkmcnt(0)
	s_barrier
	v_sub_f16_e32 v97, v1, v67
	v_lshrrev_b32_e32 v67, 16, v1
	v_sub_f16_e32 v74, v67, v74
	v_fma_f16 v98, v67, 2.0, -v74
	v_sub_f16_e32 v67, v82, v92
	v_fma_f16 v92, v76, 2.0, -v91
	;; [unrolled: 2-line block ×3, first 2 shown]
	v_sub_f16_e32 v79, v72, v95
	v_sub_f16_e32 v95, v71, v66
	v_fma_f16 v82, v82, 2.0, -v67
	v_fma_f16 v117, v71, 2.0, -v95
	v_add_f16_e32 v66, v97, v91
	v_sub_f16_e32 v67, v74, v67
	v_add_f16_e32 v71, v76, v95
	v_fma_f16 v99, v72, 2.0, -v79
	v_fma_f16 v91, v74, 2.0, -v67
	v_sub_f16_e32 v72, v68, v79
	v_fma_f16 v74, v76, 2.0, -v71
	v_fma_f16 v95, v97, 2.0, -v66
	;; [unrolled: 1-line block ×4, first 2 shown]
	v_fma_f16 v68, v74, s8, v95
	v_fma_f16 v68, v76, s9, v68
	;; [unrolled: 1-line block ×4, first 2 shown]
	v_sub_f16_e32 v76, v73, v87
	v_sub_f16_e32 v79, v75, v86
	v_fma_f16 v86, v73, 2.0, -v76
	v_sub_f16_e32 v73, v78, v93
	v_fma_f16 v87, v75, 2.0, -v79
	;; [unrolled: 2-line block ×5, first 2 shown]
	v_sub_f16_e32 v80, v84, v96
	v_add_f16_e32 v73, v76, v73
	v_fma_f16 v89, v81, 2.0, -v77
	v_sub_f16_e32 v75, v79, v75
	v_fma_f16 v81, v76, 2.0, -v73
	v_add_f16_e32 v76, v77, v80
	v_fma_f16 v96, v79, 2.0, -v75
	v_sub_f16_e32 v79, v78, v0
	v_fma_f16 v0, v77, 2.0, -v76
	v_fma_f16 v78, v78, 2.0, -v79
	v_fma_f16 v77, v0, s8, v81
	v_fma_f16 v77, v78, s9, v77
	;; [unrolled: 1-line block ×4, first 2 shown]
	v_fma_f16 v95, v95, 2.0, -v68
	v_fma_f16 v0, v81, 2.0, -v77
	;; [unrolled: 1-line block ×5, first 2 shown]
	v_fma_f16 v80, v0, s13, v95
	v_fma_f16 v80, v81, s14, v80
	;; [unrolled: 1-line block ×4, first 2 shown]
	v_fma_f16 v0, v1, 2.0, -v97
	v_sub_f16_e32 v1, v0, v82
	v_sub_f16_e32 v92, v98, v92
	;; [unrolled: 1-line block ×8, first 2 shown]
	v_fma_f16 v0, v0, 2.0, -v1
	v_fma_f16 v82, v98, 2.0, -v92
	;; [unrolled: 1-line block ×8, first 2 shown]
	v_sub_f16_e32 v50, v0, v50
	v_sub_f16_e32 v88, v82, v88
	;; [unrolled: 1-line block ×4, first 2 shown]
	v_fma_f16 v98, v0, 2.0, -v50
	v_fma_f16 v99, v82, 2.0, -v88
	;; [unrolled: 1-line block ×4, first 2 shown]
	v_sub_f16_e32 v0, v98, v0
	v_sub_f16_e32 v82, v99, v82
	v_fma_f16 v86, v98, 2.0, -v0
	v_fma_f16 v87, v99, 2.0, -v82
	v_pack_b32_f16 v86, v86, v87
	v_fma_f16 v87, v95, 2.0, -v80
	v_fma_f16 v91, v91, 2.0, -v81
	v_pack_b32_f16 v87, v87, v91
	ds_write2_b32 v116, v86, v87 offset1:8
	v_fma_f16 v86, v71, s9, v66
	v_fma_f16 v86, v72, s9, v86
	v_fma_f16 v72, v72, s9, v67
	v_fma_f16 v87, v71, s8, v72
	v_fma_f16 v71, v76, s9, v73
	v_add_f16_e32 v97, v1, v97
	v_add_f16_e32 v84, v93, v84
	v_fma_f16 v91, v79, s9, v71
	v_fma_f16 v71, v79, s9, v75
	v_sub_f16_e32 v96, v92, v96
	v_fma_f16 v1, v1, 2.0, -v97
	v_sub_f16_e32 v85, v94, v85
	v_fma_f16 v72, v93, 2.0, -v84
	v_fma_f16 v95, v76, s8, v71
	v_fma_f16 v76, v92, 2.0, -v96
	v_fma_f16 v79, v94, 2.0, -v85
	v_fma_f16 v71, v72, s8, v1
	v_fma_f16 v71, v79, s9, v71
	;; [unrolled: 1-line block ×4, first 2 shown]
	v_fma_f16 v66, v66, 2.0, -v86
	v_fma_f16 v79, v73, 2.0, -v91
	;; [unrolled: 1-line block ×4, first 2 shown]
	v_fma_f16 v73, v79, s12, v66
	v_fma_f16 v73, v75, s15, v73
	;; [unrolled: 1-line block ×4, first 2 shown]
	v_fma_f16 v1, v1, 2.0, -v71
	v_fma_f16 v76, v76, 2.0, -v72
	;; [unrolled: 1-line block ×4, first 2 shown]
	v_pack_b32_f16 v1, v1, v76
	v_pack_b32_f16 v66, v66, v67
	ds_write2_b32 v116, v1, v66 offset0:16 offset1:24
	v_fma_f16 v1, v77, s14, v68
	v_fma_f16 v76, v78, s15, v1
	;; [unrolled: 1-line block ×3, first 2 shown]
	v_add_f16_e32 v78, v50, v90
	v_sub_f16_e32 v79, v88, v89
	v_fma_f16 v77, v77, s13, v1
	v_fma_f16 v1, v50, 2.0, -v78
	v_fma_f16 v50, v88, 2.0, -v79
	v_pack_b32_f16 v1, v1, v50
	v_fma_f16 v50, v68, 2.0, -v76
	v_fma_f16 v66, v74, 2.0, -v77
	v_pack_b32_f16 v50, v50, v66
	ds_write2_b32 v116, v1, v50 offset0:32 offset1:40
	v_fma_f16 v50, v85, s9, v96
	v_fma_f16 v1, v84, s9, v97
	;; [unrolled: 1-line block ×8, first 2 shown]
	v_fma_f16 v50, v97, 2.0, -v1
	v_fma_f16 v74, v96, 2.0, -v66
	v_pack_b32_f16 v50, v50, v74
	v_fma_f16 v74, v86, 2.0, -v67
	v_fma_f16 v84, v87, 2.0, -v68
	v_pack_b32_f16 v74, v74, v84
	ds_write2_b32 v116, v50, v74 offset0:48 offset1:56
	v_pack_b32_f16 v0, v0, v82
	v_pack_b32_f16 v50, v80, v81
	ds_write2_b32 v116, v0, v50 offset0:64 offset1:72
	v_sub_f16_e32 v0, v2, v61
	v_lshrrev_b32_e32 v50, 16, v2
	v_fma_f16 v61, v2, 2.0, -v0
	v_sub_f16_e32 v2, v50, v60
	v_sub_f16_e32 v60, v54, v64
	;; [unrolled: 1-line block ×5, first 2 shown]
	v_fma_f16 v55, v55, 2.0, -v64
	v_fma_f16 v57, v57, 2.0, -v69
	v_add_f16_e32 v64, v0, v64
	v_add_f16_e32 v69, v62, v69
	v_fma_f16 v54, v54, 2.0, -v60
	v_fma_f16 v56, v56, 2.0, -v65
	v_sub_f16_e32 v60, v2, v60
	v_fma_f16 v0, v0, 2.0, -v64
	v_sub_f16_e32 v65, v63, v65
	v_fma_f16 v62, v62, 2.0, -v69
	v_fma_f16 v50, v50, 2.0, -v2
	;; [unrolled: 1-line block ×4, first 2 shown]
	v_fma_f16 v70, v62, s8, v0
	v_fma_f16 v70, v63, s9, v70
	;; [unrolled: 1-line block ×7, first 2 shown]
	v_sub_f16_e32 v19, v7, v19
	v_fma_f16 v81, v69, s8, v62
	v_sub_f16_e32 v18, v6, v18
	v_fma_f16 v7, v7, 2.0, -v19
	v_sub_f16_e32 v62, v58, v4
	v_add_f16_e32 v19, v59, v19
	v_fma_f16 v6, v6, 2.0, -v18
	v_fma_f16 v4, v8, 2.0, -v17
	;; [unrolled: 1-line block ×3, first 2 shown]
	v_sub_f16_e32 v18, v3, v18
	v_fma_f16 v58, v59, 2.0, -v19
	v_fma_f16 v3, v3, 2.0, -v18
	v_fma_f16 v59, v58, s8, v4
	v_fma_f16 v59, v3, s9, v59
	;; [unrolled: 1-line block ×8, first 2 shown]
	v_fma_f16 v0, v0, 2.0, -v70
	v_fma_f16 v3, v4, 2.0, -v59
	;; [unrolled: 1-line block ×4, first 2 shown]
	v_fma_f16 v2, v3, s13, v0
	v_fma_f16 v2, v4, s14, v2
	;; [unrolled: 1-line block ×4, first 2 shown]
	v_sub_f16_e32 v4, v61, v54
	v_sub_f16_e32 v8, v50, v55
	;; [unrolled: 1-line block ×5, first 2 shown]
	v_fma_f16 v19, v61, 2.0, -v4
	v_sub_f16_e32 v55, v53, v57
	v_fma_f16 v52, v52, 2.0, -v54
	v_fma_f16 v61, v11, 2.0, -v7
	v_sub_f16_e32 v82, v8, v54
	v_add_f16_e32 v11, v12, v7
	v_sub_f16_e32 v54, v5, v6
	v_fma_f16 v50, v50, 2.0, -v8
	v_fma_f16 v53, v53, 2.0, -v55
	;; [unrolled: 1-line block ×4, first 2 shown]
	v_add_f16_e32 v69, v4, v55
	v_fma_f16 v6, v12, 2.0, -v11
	v_fma_f16 v7, v17, 2.0, -v63
	v_fma_f16 v12, v54, s9, v82
	v_fma_f16 v17, v18, s15, v81
	v_fma_f16 v84, v4, 2.0, -v69
	v_fma_f16 v85, v8, 2.0, -v82
	;; [unrolled: 1-line block ×3, first 2 shown]
	v_fma_f16 v10, v11, s9, v69
	v_fma_f16 v11, v11, s8, v12
	;; [unrolled: 1-line block ×4, first 2 shown]
	v_sub_f16_e32 v62, v19, v52
	v_sub_f16_e32 v63, v50, v53
	v_sub_f16_e32 v61, v56, v61
	v_fma_f16 v5, v5, 2.0, -v54
	v_fma_f16 v4, v6, s8, v84
	v_fma_f16 v52, v19, 2.0, -v62
	v_fma_f16 v50, v50, 2.0, -v63
	;; [unrolled: 1-line block ×3, first 2 shown]
	v_fma_f16 v4, v5, s9, v4
	v_fma_f16 v5, v5, s8, v85
	v_fma_f16 v64, v64, 2.0, -v80
	v_sub_f16_e32 v86, v51, v57
	v_sub_f16_e32 v19, v50, v19
	v_fma_f16 v5, v6, s8, v5
	v_fma_f16 v60, v60, 2.0, -v81
	v_fma_f16 v6, v7, s12, v64
	v_fma_f16 v10, v54, s9, v10
	;; [unrolled: 1-line block ×3, first 2 shown]
	v_fma_f16 v18, v51, 2.0, -v86
	v_fma_f16 v54, v50, 2.0, -v19
	;; [unrolled: 1-line block ×3, first 2 shown]
	v_pack_b32_f16 v0, v71, v72
	v_pack_b32_f16 v50, v73, v75
	v_fma_f16 v6, v8, s15, v6
	v_fma_f16 v8, v8, s12, v60
	v_sub_f16_e32 v18, v52, v18
	ds_write2_b32 v116, v0, v50 offset0:80 offset1:88
	v_pack_b32_f16 v0, v78, v79
	v_pack_b32_f16 v50, v76, v77
	v_fma_f16 v8, v7, s13, v8
	v_fma_f16 v7, v59, s14, v70
	;; [unrolled: 1-line block ×3, first 2 shown]
	v_fma_f16 v53, v52, 2.0, -v18
	v_fma_f16 v57, v65, 2.0, -v3
	ds_write2_b32 v116, v0, v50 offset0:96 offset1:104
	v_pack_b32_f16 v0, v1, v66
	v_pack_b32_f16 v1, v67, v68
	v_fma_f16 v7, v58, s15, v7
	v_fma_f16 v9, v59, s13, v9
	v_fma_f16 v56, v84, 2.0, -v4
	v_fma_f16 v58, v85, 2.0, -v5
	;; [unrolled: 1-line block ×4, first 2 shown]
	v_add_f16_e32 v51, v62, v61
	v_sub_f16_e32 v52, v63, v86
	ds_write2_b32 v116, v0, v1 offset0:112 offset1:120
	v_pack_b32_f16 v0, v53, v54
	v_pack_b32_f16 v1, v55, v57
	v_fma_f16 v61, v62, 2.0, -v51
	v_fma_f16 v62, v63, 2.0, -v52
	;; [unrolled: 1-line block ×4, first 2 shown]
	ds_write2_b32 v124, v0, v1 offset1:8
	v_pack_b32_f16 v0, v56, v58
	v_pack_b32_f16 v1, v59, v60
	v_fma_f16 v64, v69, 2.0, -v10
	v_fma_f16 v69, v82, 2.0, -v11
	;; [unrolled: 1-line block ×4, first 2 shown]
	ds_write2_b32 v124, v0, v1 offset0:16 offset1:24
	v_pack_b32_f16 v0, v61, v62
	v_pack_b32_f16 v1, v63, v65
	ds_write2_b32 v124, v0, v1 offset0:32 offset1:40
	v_pack_b32_f16 v0, v64, v69
	v_pack_b32_f16 v1, v70, v74
	;; [unrolled: 3-line block ×6, first 2 shown]
	ds_write2_b32 v124, v0, v1 offset0:112 offset1:120
	s_waitcnt lgkmcnt(0)
	s_barrier
	ds_read2st64_b32 v[0:1], v83 offset0:64 offset1:72
	ds_read2st64_b32 v[2:3], v83 offset0:128 offset1:136
	;; [unrolled: 1-line block ×9, first 2 shown]
	s_waitcnt lgkmcnt(8)
	v_lshrrev_b32_e32 v12, 16, v0
	v_mul_f16_sdwa v60, v20, v12 dst_sel:DWORD dst_unused:UNUSED_PAD src0_sel:WORD_1 src1_sel:DWORD
	v_lshrrev_b32_e32 v19, 16, v1
	v_fma_f16 v86, v20, v0, v60
	v_mul_f16_sdwa v0, v20, v0 dst_sel:DWORD dst_unused:UNUSED_PAD src0_sel:WORD_1 src1_sel:DWORD
	v_fma_f16 v87, v20, v12, -v0
	v_mul_f16_sdwa v0, v20, v19 dst_sel:DWORD dst_unused:UNUSED_PAD src0_sel:WORD_1 src1_sel:DWORD
	s_waitcnt lgkmcnt(7)
	v_lshrrev_b32_e32 v50, 16, v3
	v_fma_f16 v60, v20, v1, v0
	v_mul_f16_sdwa v0, v20, v1 dst_sel:DWORD dst_unused:UNUSED_PAD src0_sel:WORD_1 src1_sel:DWORD
	v_lshrrev_b32_e32 v17, 16, v2
	v_mul_f16_sdwa v1, v21, v2 dst_sel:DWORD dst_unused:UNUSED_PAD src0_sel:WORD_1 src1_sel:DWORD
	v_fma_f16 v61, v20, v19, -v0
	v_mul_f16_sdwa v0, v21, v50 dst_sel:DWORD dst_unused:UNUSED_PAD src0_sel:WORD_1 src1_sel:DWORD
	s_waitcnt lgkmcnt(6)
	v_lshrrev_b32_e32 v53, 16, v5
	v_fma_f16 v88, v21, v17, -v1
	v_mul_f16_sdwa v1, v21, v17 dst_sel:DWORD dst_unused:UNUSED_PAD src0_sel:WORD_1 src1_sel:DWORD
	v_fma_f16 v63, v21, v3, v0
	v_mul_f16_sdwa v0, v21, v3 dst_sel:DWORD dst_unused:UNUSED_PAD src0_sel:WORD_1 src1_sel:DWORD
	v_lshrrev_b32_e32 v18, 16, v4
	v_fma_f16 v89, v21, v2, v1
	v_mul_f16_sdwa v1, v22, v4 dst_sel:DWORD dst_unused:UNUSED_PAD src0_sel:WORD_1 src1_sel:DWORD
	v_fma_f16 v64, v21, v50, -v0
	v_mul_f16_sdwa v0, v22, v53 dst_sel:DWORD dst_unused:UNUSED_PAD src0_sel:WORD_1 src1_sel:DWORD
	s_waitcnt lgkmcnt(4)
	v_lshrrev_b32_e32 v55, 16, v8
	v_fma_f16 v90, v22, v18, -v1
	v_mul_f16_sdwa v1, v22, v18 dst_sel:DWORD dst_unused:UNUSED_PAD src0_sel:WORD_1 src1_sel:DWORD
	v_fma_f16 v65, v22, v5, v0
	v_mul_f16_sdwa v0, v22, v5 dst_sel:DWORD dst_unused:UNUSED_PAD src0_sel:WORD_1 src1_sel:DWORD
	v_mul_f16_sdwa v5, v21, v8 dst_sel:DWORD dst_unused:UNUSED_PAD src0_sel:WORD_1 src1_sel:DWORD
	v_lshrrev_b32_e32 v59, 16, v7
	v_lshrrev_b32_e32 v62, 16, v9
	v_fma_f16 v91, v22, v4, v1
	v_mul_f16_sdwa v4, v20, v7 dst_sel:DWORD dst_unused:UNUSED_PAD src0_sel:WORD_1 src1_sel:DWORD
	v_fma_f16 v19, v21, v55, -v5
	v_mul_f16_sdwa v5, v21, v55 dst_sel:DWORD dst_unused:UNUSED_PAD src0_sel:WORD_1 src1_sel:DWORD
	v_fma_f16 v67, v21, v8, v5
	v_fma_f16 v5, v20, v59, -v4
	v_mul_f16_sdwa v4, v21, v62 dst_sel:DWORD dst_unused:UNUSED_PAD src0_sel:WORD_1 src1_sel:DWORD
	v_lshrrev_b32_e32 v54, 16, v6
	s_waitcnt lgkmcnt(3)
	v_lshrrev_b32_e32 v66, 16, v11
	v_fma_f16 v68, v21, v9, v4
	v_mul_f16_sdwa v4, v21, v9 dst_sel:DWORD dst_unused:UNUSED_PAD src0_sel:WORD_1 src1_sel:DWORD
	v_mul_f16_sdwa v1, v20, v54 dst_sel:DWORD dst_unused:UNUSED_PAD src0_sel:WORD_1 src1_sel:DWORD
	v_fma_f16 v12, v21, v62, -v4
	v_mul_f16_sdwa v4, v22, v66 dst_sel:DWORD dst_unused:UNUSED_PAD src0_sel:WORD_1 src1_sel:DWORD
	v_lshrrev_b32_e32 v56, 16, v10
	s_waitcnt lgkmcnt(2)
	v_lshrrev_b32_e32 v75, 16, v51
	s_waitcnt lgkmcnt(1)
	v_lshrrev_b32_e32 v76, 16, v57
	v_fma_f16 v2, v20, v6, v1
	v_mul_f16_sdwa v1, v20, v6 dst_sel:DWORD dst_unused:UNUSED_PAD src0_sel:WORD_1 src1_sel:DWORD
	v_mul_f16_sdwa v6, v22, v10 dst_sel:DWORD dst_unused:UNUSED_PAD src0_sel:WORD_1 src1_sel:DWORD
	v_fma_f16 v17, v22, v11, v4
	v_mul_f16_sdwa v4, v22, v11 dst_sel:DWORD dst_unused:UNUSED_PAD src0_sel:WORD_1 src1_sel:DWORD
	v_mul_f16_sdwa v9, v21, v57 dst_sel:DWORD dst_unused:UNUSED_PAD src0_sel:WORD_1 src1_sel:DWORD
	v_lshrrev_b32_e32 v79, 16, v58
	v_fma_f16 v3, v20, v54, -v1
	v_fma_f16 v55, v22, v56, -v6
	v_mul_f16_sdwa v6, v22, v56 dst_sel:DWORD dst_unused:UNUSED_PAD src0_sel:WORD_1 src1_sel:DWORD
	v_fma_f16 v18, v22, v66, -v4
	v_mul_f16_sdwa v4, v20, v75 dst_sel:DWORD dst_unused:UNUSED_PAD src0_sel:WORD_1 src1_sel:DWORD
	;; [unrolled: 2-line block ×3, first 2 shown]
	ds_read2st64_b32 v[71:72], v83 offset0:112 offset1:120
	ds_read2st64_b32 v[73:74], v83 offset0:176 offset1:184
	v_lshrrev_b32_e32 v78, 16, v52
	v_mul_f16_sdwa v1, v20, v59 dst_sel:DWORD dst_unused:UNUSED_PAD src0_sel:WORD_1 src1_sel:DWORD
	v_fma_f16 v56, v22, v10, v6
	v_fma_f16 v6, v20, v51, v4
	v_mul_f16_sdwa v4, v20, v51 dst_sel:DWORD dst_unused:UNUSED_PAD src0_sel:WORD_1 src1_sel:DWORD
	v_mul_f16_sdwa v8, v20, v52 dst_sel:DWORD dst_unused:UNUSED_PAD src0_sel:WORD_1 src1_sel:DWORD
	v_fma_f16 v50, v21, v57, v9
	v_mul_f16_sdwa v9, v21, v79 dst_sel:DWORD dst_unused:UNUSED_PAD src0_sel:WORD_1 src1_sel:DWORD
	s_waitcnt lgkmcnt(2)
	v_lshrrev_b32_e32 v77, 16, v69
	v_lshrrev_b32_e32 v80, 16, v70
	v_fma_f16 v1, v20, v7, v1
	v_fma_f16 v7, v20, v75, -v4
	v_mul_f16_sdwa v4, v20, v78 dst_sel:DWORD dst_unused:UNUSED_PAD src0_sel:WORD_1 src1_sel:DWORD
	v_fma_f16 v8, v20, v78, -v8
	v_fma_f16 v78, v21, v58, v9
	v_mul_f16_sdwa v9, v21, v58 dst_sel:DWORD dst_unused:UNUSED_PAD src0_sel:WORD_1 src1_sel:DWORD
	v_mul_f16_sdwa v10, v22, v69 dst_sel:DWORD dst_unused:UNUSED_PAD src0_sel:WORD_1 src1_sel:DWORD
	v_fma_f16 v57, v22, v77, -v10
	v_mul_f16_sdwa v10, v22, v77 dst_sel:DWORD dst_unused:UNUSED_PAD src0_sel:WORD_1 src1_sel:DWORD
	v_fma_f16 v51, v21, v79, -v9
	v_mul_f16_sdwa v9, v22, v80 dst_sel:DWORD dst_unused:UNUSED_PAD src0_sel:WORD_1 src1_sel:DWORD
	v_fma_f16 v4, v20, v52, v4
	v_fma_f16 v58, v22, v69, v10
	;; [unrolled: 1-line block ×3, first 2 shown]
	v_mul_f16_sdwa v9, v22, v70 dst_sel:DWORD dst_unused:UNUSED_PAD src0_sel:WORD_1 src1_sel:DWORD
	ds_read2st64_b32 v[69:70], v83 offset0:240 offset1:248
	s_waitcnt lgkmcnt(2)
	v_lshrrev_b32_e32 v81, 16, v71
	v_lshrrev_b32_e32 v84, 16, v72
	s_waitcnt lgkmcnt(1)
	v_lshrrev_b32_e32 v85, 16, v74
	v_fma_f16 v0, v22, v53, -v0
	v_fma_f16 v53, v22, v80, -v9
	v_mul_f16_sdwa v9, v20, v81 dst_sel:DWORD dst_unused:UNUSED_PAD src0_sel:WORD_1 src1_sel:DWORD
	v_mul_f16_sdwa v10, v20, v71 dst_sel:DWORD dst_unused:UNUSED_PAD src0_sel:WORD_1 src1_sel:DWORD
	v_mul_f16_sdwa v11, v20, v84 dst_sel:DWORD dst_unused:UNUSED_PAD src0_sel:WORD_1 src1_sel:DWORD
	v_mul_f16_sdwa v62, v20, v72 dst_sel:DWORD dst_unused:UNUSED_PAD src0_sel:WORD_1 src1_sel:DWORD
	v_lshrrev_b32_e32 v82, 16, v73
	v_fma_f16 v9, v20, v71, v9
	v_fma_f16 v10, v20, v81, -v10
	v_fma_f16 v11, v20, v72, v11
	v_fma_f16 v20, v20, v84, -v62
	v_mul_f16_sdwa v62, v21, v85 dst_sel:DWORD dst_unused:UNUSED_PAD src0_sel:WORD_1 src1_sel:DWORD
	v_mul_f16_sdwa v59, v21, v73 dst_sel:DWORD dst_unused:UNUSED_PAD src0_sel:WORD_1 src1_sel:DWORD
	;; [unrolled: 1-line block ×3, first 2 shown]
	v_fma_f16 v80, v21, v74, v62
	v_mul_f16_sdwa v62, v21, v74 dst_sel:DWORD dst_unused:UNUSED_PAD src0_sel:WORD_1 src1_sel:DWORD
	v_fma_f16 v59, v21, v82, -v59
	v_fma_f16 v79, v21, v73, v66
	v_fma_f16 v21, v21, v85, -v62
	s_waitcnt lgkmcnt(0)
	v_lshrrev_b32_e32 v62, 16, v69
	v_mul_f16_sdwa v66, v22, v69 dst_sel:DWORD dst_unused:UNUSED_PAD src0_sel:WORD_1 src1_sel:DWORD
	v_fma_f16 v66, v22, v62, -v66
	v_mul_f16_sdwa v62, v22, v62 dst_sel:DWORD dst_unused:UNUSED_PAD src0_sel:WORD_1 src1_sel:DWORD
	v_lshrrev_b32_e32 v71, 16, v70
	v_fma_f16 v69, v22, v69, v62
	v_mul_f16_sdwa v62, v22, v71 dst_sel:DWORD dst_unused:UNUSED_PAD src0_sel:WORD_1 src1_sel:DWORD
	v_fma_f16 v62, v22, v70, v62
	v_mul_f16_sdwa v70, v22, v70 dst_sel:DWORD dst_unused:UNUSED_PAD src0_sel:WORD_1 src1_sel:DWORD
	v_fma_f16 v22, v22, v71, -v70
	ds_read2st64_b32 v[70:71], v83 offset1:8
	v_sub_f16_e32 v75, v86, v91
	v_sub_f16_e32 v76, v87, v90
	v_fma_f16 v77, v86, 2.0, -v75
	v_fma_f16 v81, v87, 2.0, -v76
	s_waitcnt lgkmcnt(0)
	v_lshrrev_b32_e32 v73, 16, v70
	v_sub_f16_e32 v72, v70, v89
	v_sub_f16_e32 v74, v73, v88
	v_fma_f16 v73, v73, 2.0, -v74
	v_fma_f16 v70, v70, 2.0, -v72
	v_sub_f16_e32 v82, v70, v77
	v_sub_f16_e32 v81, v73, v81
	v_fma_f16 v70, v70, 2.0, -v82
	v_fma_f16 v73, v73, 2.0, -v81
	v_add_f16_e32 v84, v72, v76
	v_sub_f16_e32 v85, v74, v75
	v_pack_b32_f16 v70, v70, v73
	v_fma_f16 v72, v72, 2.0, -v84
	v_fma_f16 v73, v74, 2.0, -v85
	v_pack_b32_f16 v86, v72, v73
	ds_read2st64_b32 v[72:73], v83 offset0:16 offset1:24
	ds_read2st64_b32 v[74:75], v83 offset0:32 offset1:40
	;; [unrolled: 1-line block ×3, first 2 shown]
	s_waitcnt lgkmcnt(0)
	s_barrier
	buffer_load_dword v87, off, s[20:23], 0 offset:92 ; 4-byte Folded Reload
	v_sub_f16_e32 v63, v71, v63
	v_sub_f16_e32 v65, v60, v65
	;; [unrolled: 1-line block ×3, first 2 shown]
	v_fma_f16 v60, v60, 2.0, -v65
	v_fma_f16 v61, v61, 2.0, -v0
	v_add_f16_e32 v0, v63, v0
	v_sub_f16_e32 v56, v2, v56
	v_sub_f16_e32 v55, v3, v55
	v_sub_f16_e32 v67, v72, v67
	v_sub_f16_e32 v18, v5, v18
	v_sub_f16_e32 v68, v73, v68
	v_sub_f16_e32 v17, v1, v17
	v_fma_f16 v5, v5, 2.0, -v18
	v_fma_f16 v1, v1, 2.0, -v17
	v_sub_f16_e32 v50, v74, v50
	v_sub_f16_e32 v58, v6, v58
	;; [unrolled: 1-line block ×3, first 2 shown]
	v_fma_f16 v6, v6, 2.0, -v58
	v_fma_f16 v7, v7, 2.0, -v57
	v_sub_f16_e32 v78, v75, v78
	v_add_f16_e32 v57, v50, v57
	v_sub_f16_e32 v52, v4, v52
	v_sub_f16_e32 v53, v8, v53
	v_fma_f16 v4, v4, 2.0, -v52
	v_fma_f16 v8, v8, 2.0, -v53
	v_sub_f16_e32 v79, v76, v79
	v_add_f16_e32 v53, v78, v53
	v_sub_f16_e32 v69, v9, v69
	v_sub_f16_e32 v66, v10, v66
	;; [unrolled: 6-line block ×3, first 2 shown]
	v_fma_f16 v11, v11, 2.0, -v62
	v_fma_f16 v20, v20, 2.0, -v22
	v_add_f16_e32 v22, v80, v22
	s_waitcnt vmcnt(0)
	ds_write2st64_b32 v87, v70, v86 offset1:2
	v_pack_b32_f16 v70, v82, v81
	v_pack_b32_f16 v81, v84, v85
	buffer_load_dword v84, off, s[20:23], 0 offset:96 ; 4-byte Folded Reload
	ds_write2st64_b32 v87, v70, v81 offset0:4 offset1:6
	v_lshrrev_b32_e32 v70, 16, v71
	v_sub_f16_e32 v64, v70, v64
	v_fma_f16 v71, v71, 2.0, -v63
	v_fma_f16 v70, v70, 2.0, -v64
	v_sub_f16_e32 v60, v71, v60
	v_sub_f16_e32 v61, v70, v61
	v_fma_f16 v71, v71, 2.0, -v60
	v_fma_f16 v70, v70, 2.0, -v61
	v_pack_b32_f16 v70, v71, v70
	v_lshrrev_b32_e32 v71, 16, v72
	v_sub_f16_e32 v65, v64, v65
	v_fma_f16 v64, v64, 2.0, -v65
	v_pack_b32_f16 v60, v60, v61
	v_pack_b32_f16 v61, v0, v65
	v_sub_f16_e32 v65, v71, v19
	v_fma_f16 v63, v63, 2.0, -v0
	v_fma_f16 v19, v71, 2.0, -v65
	;; [unrolled: 1-line block ×4, first 2 shown]
	v_sub_f16_e32 v2, v19, v2
	v_fma_f16 v71, v19, 2.0, -v2
	v_add_f16_e32 v3, v67, v55
	v_sub_f16_e32 v19, v65, v56
	v_pack_b32_f16 v63, v63, v64
	v_fma_f16 v55, v67, 2.0, -v3
	v_fma_f16 v56, v65, 2.0, -v19
	v_pack_b32_f16 v55, v55, v56
	buffer_load_dword v56, off, s[20:23], 0 offset:84 ; 4-byte Folded Reload
	v_lshrrev_b32_e32 v64, 16, v73
	v_sub_f16_e32 v65, v64, v12
	v_fma_f16 v12, v64, 2.0, -v65
	v_sub_f16_e32 v5, v12, v5
	v_sub_f16_e32 v17, v65, v17
	v_fma_f16 v65, v65, 2.0, -v17
	v_lshrrev_b32_e32 v81, 16, v76
	v_sub_f16_e32 v59, v81, v59
	v_lshrrev_b32_e32 v82, 16, v77
	v_fma_f16 v76, v76, 2.0, -v79
	v_sub_f16_e32 v9, v76, v9
	v_sub_f16_e32 v69, v59, v69
	;; [unrolled: 1-line block ×3, first 2 shown]
	v_fma_f16 v77, v77, 2.0, -v80
	v_fma_f16 v76, v76, 2.0, -v9
	v_sub_f16_e32 v11, v77, v11
	v_sub_f16_e32 v62, v21, v62
	v_fma_f16 v77, v77, 2.0, -v11
	v_fma_f16 v80, v80, 2.0, -v22
	s_waitcnt vmcnt(1)
	ds_write2st64_b32 v84, v70, v63 offset1:2
	v_fma_f16 v70, v72, 2.0, -v67
	v_sub_f16_e32 v0, v70, v0
	v_fma_f16 v70, v70, 2.0, -v0
	v_pack_b32_f16 v0, v0, v2
	v_pack_b32_f16 v2, v3, v19
	buffer_load_dword v3, off, s[20:23], 0 offset:80 ; 4-byte Folded Reload
	v_fma_f16 v72, v73, 2.0, -v68
	v_sub_f16_e32 v1, v72, v1
	v_fma_f16 v67, v12, 2.0, -v5
	v_add_f16_e32 v12, v68, v18
	v_fma_f16 v64, v72, 2.0, -v1
	v_fma_f16 v18, v68, 2.0, -v12
	v_lshrrev_b32_e32 v63, 16, v74
	v_sub_f16_e32 v54, v63, v54
	v_lshrrev_b32_e32 v73, 16, v75
	v_fma_f16 v74, v74, 2.0, -v50
	v_fma_f16 v63, v63, 2.0, -v54
	v_sub_f16_e32 v6, v74, v6
	v_sub_f16_e32 v7, v63, v7
	;; [unrolled: 1-line block ×4, first 2 shown]
	v_fma_f16 v75, v75, 2.0, -v78
	v_fma_f16 v68, v74, 2.0, -v6
	;; [unrolled: 1-line block ×6, first 2 shown]
	v_sub_f16_e32 v4, v75, v4
	s_waitcnt vmcnt(1)
	ds_write2st64_b32 v56, v0, v2 offset0:4 offset1:6
	v_pack_b32_f16 v0, v64, v67
	v_pack_b32_f16 v2, v18, v65
	v_sub_f16_e32 v8, v72, v8
	v_sub_f16_e32 v52, v51, v52
	v_fma_f16 v73, v75, 2.0, -v4
	v_fma_f16 v72, v72, 2.0, -v8
	;; [unrolled: 1-line block ×5, first 2 shown]
	v_sub_f16_e32 v10, v75, v10
	v_fma_f16 v75, v75, 2.0, -v10
	v_fma_f16 v78, v79, 2.0, -v66
	v_fma_f16 v59, v59, 2.0, -v69
	v_fma_f16 v79, v82, 2.0, -v21
	v_sub_f16_e32 v20, v79, v20
	v_fma_f16 v79, v79, 2.0, -v20
	v_fma_f16 v21, v21, 2.0, -v62
	ds_write2st64_b32 v84, v60, v61 offset0:4 offset1:6
	v_pack_b32_f16 v60, v70, v71
	ds_write2st64_b32 v56, v60, v55 offset1:2
	s_waitcnt vmcnt(0)
	ds_write2st64_b32 v3, v0, v2 offset1:2
	buffer_load_dword v2, off, s[20:23], 0 offset:100 ; 4-byte Folded Reload
	v_pack_b32_f16 v0, v1, v5
	v_pack_b32_f16 v1, v12, v17
	ds_write2st64_b32 v3, v0, v1 offset0:4 offset1:6
	v_pack_b32_f16 v0, v68, v63
	v_pack_b32_f16 v1, v50, v54
	s_waitcnt vmcnt(0)
	ds_write2st64_b32 v2, v0, v1 offset1:2
	v_pack_b32_f16 v0, v6, v7
	v_pack_b32_f16 v1, v57, v58
	ds_write2st64_b32 v2, v0, v1 offset0:4 offset1:6
	v_pack_b32_f16 v0, v73, v72
	v_pack_b32_f16 v1, v74, v51
	ds_write2st64_b32 v126, v0, v1 offset1:2
	v_pack_b32_f16 v0, v4, v8
	v_pack_b32_f16 v1, v53, v52
	ds_write2st64_b32 v126, v0, v1 offset0:4 offset1:6
	v_pack_b32_f16 v0, v76, v75
	v_pack_b32_f16 v1, v78, v59
	;; [unrolled: 6-line block ×3, first 2 shown]
	ds_write2st64_b32 v118, v0, v1 offset1:2
	v_pack_b32_f16 v0, v11, v20
	v_pack_b32_f16 v1, v22, v62
	ds_write2st64_b32 v118, v0, v1 offset0:4 offset1:6
	s_waitcnt lgkmcnt(0)
	s_barrier
	ds_read2st64_b32 v[1:2], v83 offset1:8
	ds_read2st64_b32 v[4:5], v83 offset0:32 offset1:40
	ds_read2st64_b32 v[6:7], v83 offset0:64 offset1:72
	;; [unrolled: 1-line block ×7, first 2 shown]
	s_waitcnt lgkmcnt(4)
	v_lshrrev_b32_e32 v50, 16, v8
	v_lshrrev_b32_e32 v71, 16, v9
	;; [unrolled: 1-line block ×3, first 2 shown]
	v_mul_f16_sdwa v87, v13, v0 dst_sel:DWORD dst_unused:UNUSED_PAD src0_sel:WORD_1 src1_sel:DWORD
	v_lshrrev_b32_e32 v69, 16, v5
	v_fma_f16 v87, v13, v4, v87
	v_mul_f16_sdwa v4, v13, v4 dst_sel:DWORD dst_unused:UNUSED_PAD src0_sel:WORD_1 src1_sel:DWORD
	v_fma_f16 v0, v13, v0, -v4
	v_mul_f16_sdwa v4, v13, v69 dst_sel:DWORD dst_unused:UNUSED_PAD src0_sel:WORD_1 src1_sel:DWORD
	v_lshrrev_b32_e32 v12, 16, v6
	v_fma_f16 v88, v13, v5, v4
	v_mul_f16_sdwa v4, v13, v5 dst_sel:DWORD dst_unused:UNUSED_PAD src0_sel:WORD_1 src1_sel:DWORD
	v_mul_f16_sdwa v5, v14, v6 dst_sel:DWORD dst_unused:UNUSED_PAD src0_sel:WORD_1 src1_sel:DWORD
	v_lshrrev_b32_e32 v70, 16, v7
	v_fma_f16 v5, v14, v12, -v5
	v_mul_f16_sdwa v12, v14, v12 dst_sel:DWORD dst_unused:UNUSED_PAD src0_sel:WORD_1 src1_sel:DWORD
	v_fma_f16 v6, v14, v6, v12
	v_fma_f16 v12, v13, v69, -v4
	v_mul_f16_sdwa v4, v14, v70 dst_sel:DWORD dst_unused:UNUSED_PAD src0_sel:WORD_1 src1_sel:DWORD
	v_fma_f16 v89, v14, v7, v4
	v_mul_f16_sdwa v4, v14, v7 dst_sel:DWORD dst_unused:UNUSED_PAD src0_sel:WORD_1 src1_sel:DWORD
	v_mul_f16_sdwa v7, v15, v8 dst_sel:DWORD dst_unused:UNUSED_PAD src0_sel:WORD_1 src1_sel:DWORD
	ds_read2st64_b32 v[51:52], v83 offset0:48 offset1:56
	v_fma_f16 v7, v15, v50, -v7
	v_mul_f16_sdwa v50, v15, v50 dst_sel:DWORD dst_unused:UNUSED_PAD src0_sel:WORD_1 src1_sel:DWORD
	v_fma_f16 v8, v15, v8, v50
	v_fma_f16 v50, v14, v70, -v4
	v_mul_f16_sdwa v4, v15, v71 dst_sel:DWORD dst_unused:UNUSED_PAD src0_sel:WORD_1 src1_sel:DWORD
	s_waitcnt lgkmcnt(4)
	v_lshrrev_b32_e32 v65, 16, v10
	v_fma_f16 v70, v15, v9, v4
	v_mul_f16_sdwa v4, v15, v9 dst_sel:DWORD dst_unused:UNUSED_PAD src0_sel:WORD_1 src1_sel:DWORD
	v_mul_f16_sdwa v9, v16, v10 dst_sel:DWORD dst_unused:UNUSED_PAD src0_sel:WORD_1 src1_sel:DWORD
	v_lshrrev_b32_e32 v72, 16, v11
	v_fma_f16 v9, v16, v65, -v9
	v_mul_f16_sdwa v65, v16, v65 dst_sel:DWORD dst_unused:UNUSED_PAD src0_sel:WORD_1 src1_sel:DWORD
	v_fma_f16 v10, v16, v10, v65
	v_fma_f16 v65, v15, v71, -v4
	v_mul_f16_sdwa v4, v16, v72 dst_sel:DWORD dst_unused:UNUSED_PAD src0_sel:WORD_1 src1_sel:DWORD
	s_waitcnt lgkmcnt(0)
	v_lshrrev_b32_e32 v76, 16, v51
	v_fma_f16 v71, v16, v11, v4
	v_mul_f16_sdwa v4, v16, v11 dst_sel:DWORD dst_unused:UNUSED_PAD src0_sel:WORD_1 src1_sel:DWORD
	v_fma_f16 v11, v16, v72, -v4
	v_mul_f16_sdwa v4, v13, v76 dst_sel:DWORD dst_unused:UNUSED_PAD src0_sel:WORD_1 src1_sel:DWORD
	v_lshrrev_b32_e32 v82, 16, v52
	v_fma_f16 v90, v13, v51, v4
	v_mul_f16_sdwa v4, v13, v51 dst_sel:DWORD dst_unused:UNUSED_PAD src0_sel:WORD_1 src1_sel:DWORD
	ds_read2st64_b32 v[53:54], v83 offset0:80 offset1:88
	ds_read2st64_b32 v[55:56], v83 offset0:112 offset1:120
	ds_read2st64_b32 v[57:58], v83 offset0:144 offset1:152
	ds_read2st64_b32 v[59:60], v83 offset0:176 offset1:184
	ds_read2st64_b32 v[61:62], v83 offset0:208 offset1:216
	v_fma_f16 v76, v13, v76, -v4
	v_mul_f16_sdwa v4, v13, v82 dst_sel:DWORD dst_unused:UNUSED_PAD src0_sel:WORD_1 src1_sel:DWORD
	s_waitcnt lgkmcnt(4)
	v_lshrrev_b32_e32 v84, 16, v54
	v_fma_f16 v91, v13, v52, v4
	v_mul_f16_sdwa v4, v13, v52 dst_sel:DWORD dst_unused:UNUSED_PAD src0_sel:WORD_1 src1_sel:DWORD
	v_fma_f16 v93, v13, v82, -v4
	v_mul_f16_sdwa v4, v14, v84 dst_sel:DWORD dst_unused:UNUSED_PAD src0_sel:WORD_1 src1_sel:DWORD
	s_waitcnt lgkmcnt(3)
	v_lshrrev_b32_e32 v85, 16, v56
	v_fma_f16 v82, v14, v54, v4
	v_mul_f16_sdwa v4, v14, v54 dst_sel:DWORD dst_unused:UNUSED_PAD src0_sel:WORD_1 src1_sel:DWORD
	v_lshrrev_b32_e32 v78, 16, v55
	v_mul_f16_sdwa v13, v15, v55 dst_sel:DWORD dst_unused:UNUSED_PAD src0_sel:WORD_1 src1_sel:DWORD
	v_fma_f16 v84, v14, v84, -v4
	v_mul_f16_sdwa v4, v15, v85 dst_sel:DWORD dst_unused:UNUSED_PAD src0_sel:WORD_1 src1_sel:DWORD
	s_waitcnt lgkmcnt(2)
	v_lshrrev_b32_e32 v86, 16, v58
	v_fma_f16 v94, v15, v78, -v13
	v_mul_f16_sdwa v13, v15, v78 dst_sel:DWORD dst_unused:UNUSED_PAD src0_sel:WORD_1 src1_sel:DWORD
	v_fma_f16 v96, v15, v56, v4
	v_mul_f16_sdwa v4, v15, v56 dst_sel:DWORD dst_unused:UNUSED_PAD src0_sel:WORD_1 src1_sel:DWORD
	v_lshrrev_b32_e32 v79, 16, v57
	v_fma_f16 v95, v15, v55, v13
	v_mul_f16_sdwa v13, v16, v57 dst_sel:DWORD dst_unused:UNUSED_PAD src0_sel:WORD_1 src1_sel:DWORD
	v_fma_f16 v85, v15, v85, -v4
	v_mul_f16_sdwa v4, v16, v86 dst_sel:DWORD dst_unused:UNUSED_PAD src0_sel:WORD_1 src1_sel:DWORD
	v_lshrrev_b32_e32 v66, 16, v17
	v_lshrrev_b32_e32 v77, 16, v53
	v_mul_f16_sdwa v51, v14, v53 dst_sel:DWORD dst_unused:UNUSED_PAD src0_sel:WORD_1 src1_sel:DWORD
	v_fma_f16 v56, v16, v79, -v13
	v_mul_f16_sdwa v13, v16, v79 dst_sel:DWORD dst_unused:UNUSED_PAD src0_sel:WORD_1 src1_sel:DWORD
	v_fma_f16 v97, v16, v58, v4
	v_mul_f16_sdwa v4, v16, v58 dst_sel:DWORD dst_unused:UNUSED_PAD src0_sel:WORD_1 src1_sel:DWORD
	v_fma_f16 v92, v14, v77, -v51
	v_mul_f16_sdwa v51, v14, v77 dst_sel:DWORD dst_unused:UNUSED_PAD src0_sel:WORD_1 src1_sel:DWORD
	v_fma_f16 v57, v16, v57, v13
	v_fma_f16 v86, v16, v86, -v4
	v_mul_f16_sdwa v16, v23, v66 dst_sel:DWORD dst_unused:UNUSED_PAD src0_sel:WORD_1 src1_sel:DWORD
	v_lshrrev_b32_e32 v73, 16, v18
	v_fma_f16 v77, v14, v53, v51
	v_fma_f16 v51, v23, v17, v16
	v_mul_f16_sdwa v16, v23, v17 dst_sel:DWORD dst_unused:UNUSED_PAD src0_sel:WORD_1 src1_sel:DWORD
	v_fma_f16 v17, v23, v66, -v16
	v_mul_f16_sdwa v16, v23, v73 dst_sel:DWORD dst_unused:UNUSED_PAD src0_sel:WORD_1 src1_sel:DWORD
	v_lshrrev_b32_e32 v67, 16, v19
	v_lshrrev_b32_e32 v74, 16, v20
	v_fma_f16 v54, v23, v18, v16
	v_mul_f16_sdwa v16, v23, v18 dst_sel:DWORD dst_unused:UNUSED_PAD src0_sel:WORD_1 src1_sel:DWORD
	v_lshrrev_b32_e32 v68, 16, v21
	v_mul_f16_sdwa v52, v24, v67 dst_sel:DWORD dst_unused:UNUSED_PAD src0_sel:WORD_1 src1_sel:DWORD
	v_fma_f16 v55, v23, v73, -v16
	v_mul_f16_sdwa v16, v24, v74 dst_sel:DWORD dst_unused:UNUSED_PAD src0_sel:WORD_1 src1_sel:DWORD
	v_lshrrev_b32_e32 v75, 16, v22
	v_mul_f16_sdwa v18, v24, v19 dst_sel:DWORD dst_unused:UNUSED_PAD src0_sel:WORD_1 src1_sel:DWORD
	v_fma_f16 v19, v24, v19, v52
	v_fma_f16 v52, v24, v20, v16
	v_mul_f16_sdwa v16, v24, v20 dst_sel:DWORD dst_unused:UNUSED_PAD src0_sel:WORD_1 src1_sel:DWORD
	v_mul_f16_sdwa v53, v25, v68 dst_sel:DWORD dst_unused:UNUSED_PAD src0_sel:WORD_1 src1_sel:DWORD
	;; [unrolled: 1-line block ×3, first 2 shown]
	v_fma_f16 v21, v25, v21, v53
	v_fma_f16 v53, v24, v74, -v16
	v_mul_f16_sdwa v16, v25, v75 dst_sel:DWORD dst_unused:UNUSED_PAD src0_sel:WORD_1 src1_sel:DWORD
	s_waitcnt lgkmcnt(1)
	v_lshrrev_b32_e32 v80, 16, v59
	v_fma_f16 v58, v25, v22, v16
	v_mul_f16_sdwa v16, v25, v22 dst_sel:DWORD dst_unused:UNUSED_PAD src0_sel:WORD_1 src1_sel:DWORD
	ds_read2st64_b32 v[63:64], v83 offset0:240 offset1:248
	v_fma_f16 v22, v25, v75, -v16
	v_mul_f16_sdwa v16, v23, v80 dst_sel:DWORD dst_unused:UNUSED_PAD src0_sel:WORD_1 src1_sel:DWORD
	v_lshrrev_b32_e32 v4, 16, v60
	v_fma_f16 v66, v23, v59, v16
	v_mul_f16_sdwa v16, v23, v59 dst_sel:DWORD dst_unused:UNUSED_PAD src0_sel:WORD_1 src1_sel:DWORD
	v_fma_f16 v18, v24, v67, -v18
	v_fma_f16 v67, v23, v80, -v16
	v_mul_f16_sdwa v16, v23, v4 dst_sel:DWORD dst_unused:UNUSED_PAD src0_sel:WORD_1 src1_sel:DWORD
	s_waitcnt lgkmcnt(1)
	v_lshrrev_b32_e32 v14, 16, v62
	v_fma_f16 v74, v23, v60, v16
	v_mul_f16_sdwa v16, v23, v60 dst_sel:DWORD dst_unused:UNUSED_PAD src0_sel:WORD_1 src1_sel:DWORD
	v_fma_f16 v98, v23, v4, -v16
	v_mul_f16_sdwa v4, v24, v14 dst_sel:DWORD dst_unused:UNUSED_PAD src0_sel:WORD_1 src1_sel:DWORD
	s_waitcnt lgkmcnt(0)
	v_lshrrev_b32_e32 v15, 16, v64
	v_fma_f16 v99, v24, v62, v4
	v_mul_f16_sdwa v4, v24, v62 dst_sel:DWORD dst_unused:UNUSED_PAD src0_sel:WORD_1 src1_sel:DWORD
	v_lshrrev_b32_e32 v13, 16, v63
	v_mul_f16_sdwa v16, v25, v63 dst_sel:DWORD dst_unused:UNUSED_PAD src0_sel:WORD_1 src1_sel:DWORD
	v_fma_f16 v118, v24, v14, -v4
	v_mul_f16_sdwa v4, v25, v15 dst_sel:DWORD dst_unused:UNUSED_PAD src0_sel:WORD_1 src1_sel:DWORD
	v_lshrrev_b32_e32 v3, 16, v1
	v_fma_f16 v20, v25, v68, -v20
	v_fma_f16 v116, v25, v13, -v16
	v_mul_f16_sdwa v13, v25, v13 dst_sel:DWORD dst_unused:UNUSED_PAD src0_sel:WORD_1 src1_sel:DWORD
	v_fma_f16 v119, v25, v64, v4
	v_mul_f16_sdwa v4, v25, v64 dst_sel:DWORD dst_unused:UNUSED_PAD src0_sel:WORD_1 src1_sel:DWORD
	v_fma_f16 v117, v25, v63, v13
	v_fma_f16 v120, v25, v15, -v4
	v_sub_f16_e32 v4, v3, v9
	v_sub_f16_e32 v9, v5, v18
	;; [unrolled: 1-line block ×3, first 2 shown]
	v_fma_f16 v73, v5, 2.0, -v9
	v_sub_f16_e32 v5, v87, v51
	v_fma_f16 v79, v7, 2.0, -v13
	v_sub_f16_e32 v7, v88, v54
	ds_read2st64_b32 v[15:16], v83 offset0:16 offset1:24
	v_fma_f16 v68, v87, 2.0, -v5
	v_fma_f16 v25, v88, 2.0, -v7
	buffer_load_dword v87, off, s[20:23], 0 offset:68 ; 4-byte Folded Reload
	buffer_load_dword v88, off, s[20:23], 0 offset:72 ; 4-byte Folded Reload
	v_fma_f16 v63, v3, 2.0, -v4
	v_sub_f16_e32 v3, v6, v19
	v_lshrrev_b32_e32 v81, 16, v61
	v_mul_f16_sdwa v59, v24, v61 dst_sel:DWORD dst_unused:UNUSED_PAD src0_sel:WORD_1 src1_sel:DWORD
	v_sub_f16_e32 v10, v1, v10
	v_fma_f16 v72, v6, 2.0, -v3
	v_sub_f16_e32 v6, v0, v17
	v_sub_f16_e32 v20, v4, v3
	v_fma_f16 v75, v24, v81, -v59
	v_mul_f16_sdwa v59, v24, v81 dst_sel:DWORD dst_unused:UNUSED_PAD src0_sel:WORD_1 src1_sel:DWORD
	v_fma_f16 v69, v0, 2.0, -v6
	v_sub_f16_e32 v0, v8, v21
	v_add_f16_e32 v19, v10, v9
	v_fma_f16 v81, v4, 2.0, -v20
	v_add_f16_e32 v4, v5, v13
	v_fma_f16 v78, v8, 2.0, -v0
	v_fma_f16 v80, v10, 2.0, -v19
	v_sub_f16_e32 v0, v6, v0
	v_fma_f16 v3, v5, 2.0, -v4
	v_fma_f16 v5, v6, 2.0, -v0
	v_fma_f16 v6, v3, s8, v80
	v_fma_f16 v13, v5, s9, v6
	;; [unrolled: 1-line block ×8, first 2 shown]
	v_lshrrev_b32_e32 v24, 16, v2
	v_fma_f16 v4, v4, s8, v0
	v_fma_f16 v0, v1, 2.0, -v10
	v_sub_f16_e32 v1, v2, v71
	v_sub_f16_e32 v6, v50, v53
	;; [unrolled: 1-line block ×4, first 2 shown]
	v_add_f16_e32 v21, v1, v6
	v_fma_f16 v23, v2, 2.0, -v1
	v_sub_f16_e32 v2, v89, v52
	v_sub_f16_e32 v8, v12, v55
	;; [unrolled: 1-line block ×3, first 2 shown]
	v_fma_f16 v54, v1, 2.0, -v21
	v_add_f16_e32 v1, v7, v11
	v_fma_f16 v52, v89, 2.0, -v2
	v_fma_f16 v53, v50, 2.0, -v6
	v_sub_f16_e32 v22, v5, v2
	v_sub_f16_e32 v2, v8, v10
	v_fma_f16 v6, v7, 2.0, -v1
	v_fma_f16 v24, v24, 2.0, -v5
	;; [unrolled: 1-line block ×4, first 2 shown]
	v_fma_f16 v5, v6, s8, v54
	v_fma_f16 v5, v7, s9, v5
	;; [unrolled: 1-line block ×5, first 2 shown]
	s_waitcnt lgkmcnt(0)
	v_lshrrev_b32_e32 v9, 16, v15
	v_fma_f16 v6, v2, s9, v6
	v_fma_f16 v2, v2, s9, v22
	v_fma_f16 v51, v12, 2.0, -v8
	v_fma_f16 v8, v1, s8, v2
	v_sub_f16_e32 v2, v9, v56
	v_fma_f16 v60, v9, 2.0, -v2
	v_sub_f16_e32 v9, v77, v61
	v_fma_f16 v58, v70, 2.0, -v10
	v_fma_f16 v59, v65, 2.0, -v11
	v_sub_f16_e32 v1, v15, v57
	v_sub_f16_e32 v10, v92, v75
	;; [unrolled: 1-line block ×7, first 2 shown]
	v_add_f16_e32 v56, v1, v10
	v_fma_f16 v67, v2, 2.0, -v57
	v_add_f16_e32 v2, v11, v18
	v_fma_f16 v65, v92, 2.0, -v10
	v_fma_f16 v70, v95, 2.0, -v17
	;; [unrolled: 1-line block ×3, first 2 shown]
	v_sub_f16_e32 v17, v12, v17
	v_fma_f16 v10, v11, 2.0, -v2
	v_fma_f16 v64, v77, 2.0, -v9
	;; [unrolled: 1-line block ×4, first 2 shown]
	v_fma_f16 v9, v10, s8, v66
	v_fma_f16 v62, v76, 2.0, -v12
	v_fma_f16 v9, v11, s9, v9
	v_fma_f16 v11, v11, s8, v67
	;; [unrolled: 1-line block ×3, first 2 shown]
	v_fma_f16 v123, v15, 2.0, -v1
	v_sub_f16_e32 v1, v16, v97
	v_fma_f16 v11, v10, s8, v11
	v_fma_f16 v10, v2, s9, v56
	;; [unrolled: 1-line block ×3, first 2 shown]
	v_lshrrev_b32_e32 v2, 16, v16
	v_fma_f16 v76, v16, 2.0, -v1
	v_sub_f16_e32 v16, v84, v118
	v_fma_f16 v10, v17, s9, v10
	v_sub_f16_e32 v15, v2, v86
	v_fma_f16 v118, v84, 2.0, -v16
	v_sub_f16_e32 v17, v91, v74
	v_sub_f16_e32 v84, v85, v120
	v_add_f16_e32 v74, v1, v16
	v_fma_f16 v71, v94, 2.0, -v18
	v_fma_f16 v77, v2, 2.0, -v15
	v_sub_f16_e32 v2, v82, v99
	v_sub_f16_e32 v18, v93, v98
	v_sub_f16_e32 v50, v96, v119
	v_fma_f16 v119, v1, 2.0, -v74
	v_add_f16_e32 v1, v17, v84
	v_fma_f16 v117, v82, 2.0, -v2
	v_sub_f16_e32 v75, v15, v2
	v_sub_f16_e32 v2, v18, v50
	v_fma_f16 v16, v17, 2.0, -v1
	v_fma_f16 v82, v91, 2.0, -v17
	;; [unrolled: 1-line block ×4, first 2 shown]
	v_fma_f16 v15, v16, s8, v119
	v_fma_f16 v15, v17, s9, v15
	;; [unrolled: 1-line block ×5, first 2 shown]
	v_fma_f16 v121, v96, 2.0, -v50
	v_fma_f16 v16, v2, s9, v16
	v_fma_f16 v2, v2, s9, v75
	v_sub_f16_e32 v50, v0, v72
	v_sub_f16_e32 v72, v63, v73
	v_fma_f16 v116, v93, 2.0, -v18
	v_fma_f16 v18, v1, s8, v2
	v_fma_f16 v1, v63, 2.0, -v72
	v_sub_f16_e32 v63, v68, v78
	v_sub_f16_e32 v73, v69, v79
	v_fma_f16 v0, v0, 2.0, -v50
	v_fma_f16 v2, v68, 2.0, -v63
	;; [unrolled: 1-line block ×3, first 2 shown]
	v_sub_f16_e32 v68, v0, v2
	v_sub_f16_e32 v69, v1, v69
	v_fma_f16 v0, v0, 2.0, -v68
	v_fma_f16 v1, v1, 2.0, -v69
	;; [unrolled: 1-line block ×4, first 2 shown]
	v_pack_b32_f16 v0, v0, v1
	v_pack_b32_f16 v78, v2, v78
	v_sub_f16_e32 v52, v23, v52
	v_sub_f16_e32 v53, v24, v53
	;; [unrolled: 1-line block ×4, first 2 shown]
	s_waitcnt vmcnt(0)
	s_barrier
	ds_write2st64_b32 v83, v0, v78 offset1:8
	v_add_f16_e32 v0, v50, v73
	v_fma_f16 v73, v19, 2.0, -v3
	v_fma_f16 v78, v20, 2.0, -v4
	;; [unrolled: 1-line block ×6, first 2 shown]
	v_sub_f16_e32 v63, v72, v63
	v_sub_f16_e32 v19, v23, v19
	v_sub_f16_e32 v20, v24, v20
	v_fma_f16 v50, v50, 2.0, -v0
	v_fma_f16 v23, v23, 2.0, -v19
	;; [unrolled: 1-line block ×5, first 2 shown]
	v_add_f16_e32 v54, v52, v59
	v_sub_f16_e32 v55, v53, v58
	v_pack_b32_f16 v0, v0, v63
	v_pack_b32_f16 v3, v3, v4
	v_fma_f16 v52, v52, 2.0, -v54
	v_fma_f16 v53, v53, 2.0, -v55
	;; [unrolled: 1-line block ×4, first 2 shown]
	v_sub_f16_e32 v58, v123, v64
	v_sub_f16_e32 v59, v60, v65
	;; [unrolled: 1-line block ×4, first 2 shown]
	ds_write2st64_b32 v83, v0, v3 offset0:48 offset1:56
	v_pack_b32_f16 v0, v23, v24
	v_pack_b32_f16 v3, v25, v51
	v_fma_f16 v64, v123, 2.0, -v58
	v_fma_f16 v60, v60, 2.0, -v59
	;; [unrolled: 1-line block ×4, first 2 shown]
	ds_write2st64_b32 v83, v0, v3 offset0:64 offset1:72
	v_pack_b32_f16 v0, v52, v53
	v_pack_b32_f16 v3, v21, v22
	v_sub_f16_e32 v61, v64, v61
	v_sub_f16_e32 v62, v60, v62
	ds_write2st64_b32 v83, v0, v3 offset0:80 offset1:88
	v_pack_b32_f16 v0, v19, v20
	v_pack_b32_f16 v3, v5, v7
	v_fma_f16 v122, v85, 2.0, -v84
	v_fma_f16 v64, v64, 2.0, -v61
	;; [unrolled: 1-line block ×5, first 2 shown]
	v_add_f16_e32 v70, v58, v70
	v_sub_f16_e32 v65, v59, v65
	ds_write2st64_b32 v83, v0, v3 offset0:96 offset1:104
	v_pack_b32_f16 v0, v54, v55
	v_pack_b32_f16 v3, v6, v8
	v_fma_f16 v58, v58, 2.0, -v70
	v_fma_f16 v59, v59, 2.0, -v65
	;; [unrolled: 1-line block ×4, first 2 shown]
	v_sub_f16_e32 v71, v76, v117
	v_sub_f16_e32 v79, v77, v118
	;; [unrolled: 1-line block ×4, first 2 shown]
	ds_write2st64_b32 v83, v0, v3 offset0:112 offset1:120
	v_pack_b32_f16 v0, v64, v60
	v_pack_b32_f16 v3, v66, v67
	v_fma_f16 v76, v76, 2.0, -v71
	v_fma_f16 v77, v77, 2.0, -v79
	;; [unrolled: 1-line block ×4, first 2 shown]
	ds_write2st64_b32 v83, v0, v3 offset0:128 offset1:136
	v_pack_b32_f16 v0, v58, v59
	v_pack_b32_f16 v3, v56, v57
	v_sub_f16_e32 v82, v76, v82
	v_sub_f16_e32 v84, v77, v84
	ds_write2st64_b32 v83, v0, v3 offset0:144 offset1:152
	v_pack_b32_f16 v0, v61, v62
	v_pack_b32_f16 v3, v9, v11
	v_fma_f16 v76, v76, 2.0, -v82
	v_fma_f16 v77, v77, 2.0, -v84
	;; [unrolled: 1-line block ×4, first 2 shown]
	v_add_f16_e32 v81, v71, v81
	v_sub_f16_e32 v80, v79, v80
	ds_write2st64_b32 v83, v0, v3 offset0:160 offset1:168
	v_pack_b32_f16 v0, v70, v65
	v_pack_b32_f16 v3, v10, v12
	v_fma_f16 v71, v71, 2.0, -v81
	v_fma_f16 v79, v79, 2.0, -v80
	;; [unrolled: 1-line block ×4, first 2 shown]
	ds_write2st64_b32 v83, v0, v3 offset0:176 offset1:184
	v_pack_b32_f16 v0, v76, v77
	v_pack_b32_f16 v3, v85, v86
	v_fma_f16 v72, v72, 2.0, -v63
	ds_write2st64_b32 v83, v0, v3 offset0:192 offset1:200
	v_pack_b32_f16 v0, v71, v79
	v_pack_b32_f16 v3, v74, v75
	;; [unrolled: 1-line block ×4, first 2 shown]
	ds_write2st64_b32 v83, v0, v3 offset0:208 offset1:216
	v_pack_b32_f16 v0, v82, v84
	v_pack_b32_f16 v3, v15, v17
	ds_write2st64_b32 v83, v50, v72 offset0:16 offset1:24
	v_pack_b32_f16 v50, v68, v69
	v_pack_b32_f16 v13, v13, v14
	;; [unrolled: 3-line block ×3, first 2 shown]
	ds_write2st64_b32 v83, v50, v13 offset0:32 offset1:40
	ds_write2st64_b32 v83, v0, v3 offset0:240 offset1:248
	s_waitcnt lgkmcnt(0)
	s_barrier
	ds_read2st64_b32 v[7:8], v83 offset1:8
	ds_read2st64_b32 v[9:10], v83 offset0:64 offset1:72
	ds_read2st64_b32 v[11:12], v83 offset0:128 offset1:136
	;; [unrolled: 1-line block ×11, first 2 shown]
	s_waitcnt lgkmcnt(10)
	v_lshrrev_b32_e32 v25, 16, v9
	v_mul_f16_sdwa v86, v29, v25 dst_sel:DWORD dst_unused:UNUSED_PAD src0_sel:WORD_1 src1_sel:DWORD
	s_waitcnt lgkmcnt(9)
	v_lshrrev_b32_e32 v60, 16, v11
	v_fma_f16 v86, v29, v9, v86
	v_mul_f16_sdwa v9, v29, v9 dst_sel:DWORD dst_unused:UNUSED_PAD src0_sel:WORD_1 src1_sel:DWORD
	v_fma_f16 v9, v29, v25, -v9
	v_mul_f16_sdwa v25, v30, v60 dst_sel:DWORD dst_unused:UNUSED_PAD src0_sel:WORD_1 src1_sel:DWORD
	v_lshrrev_b32_e32 v63, 16, v10
	v_fma_f16 v25, v30, v11, v25
	v_mul_f16_sdwa v11, v30, v11 dst_sel:DWORD dst_unused:UNUSED_PAD src0_sel:WORD_1 src1_sel:DWORD
	v_fma_f16 v11, v30, v60, -v11
	v_mul_f16_sdwa v60, v26, v63 dst_sel:DWORD dst_unused:UNUSED_PAD src0_sel:WORD_1 src1_sel:DWORD
	;; [unrolled: 5-line block ×3, first 2 shown]
	s_waitcnt lgkmcnt(8)
	v_lshrrev_b32_e32 v65, 16, v14
	v_fma_f16 v26, v27, v12, v26
	v_mul_f16_sdwa v12, v27, v12 dst_sel:DWORD dst_unused:UNUSED_PAD src0_sel:WORD_1 src1_sel:DWORD
	v_fma_f16 v12, v27, v64, -v12
	v_mul_f16_sdwa v27, v28, v65 dst_sel:DWORD dst_unused:UNUSED_PAD src0_sel:WORD_1 src1_sel:DWORD
	s_waitcnt lgkmcnt(6)
	v_lshrrev_b32_e32 v67, 16, v17
	v_fma_f16 v27, v28, v14, v27
	v_mul_f16_sdwa v14, v28, v14 dst_sel:DWORD dst_unused:UNUSED_PAD src0_sel:WORD_1 src1_sel:DWORD
	v_fma_f16 v14, v28, v65, -v14
	v_mul_f16_sdwa v28, v35, v67 dst_sel:DWORD dst_unused:UNUSED_PAD src0_sel:WORD_1 src1_sel:DWORD
	;; [unrolled: 6-line block ×4, first 2 shown]
	v_lshrrev_b32_e32 v71, 16, v18
	v_fma_f16 v36, v37, v21, v36
	v_mul_f16_sdwa v21, v37, v21 dst_sel:DWORD dst_unused:UNUSED_PAD src0_sel:WORD_1 src1_sel:DWORD
	v_fma_f16 v21, v37, v69, -v21
	v_mul_f16_sdwa v37, v32, v71 dst_sel:DWORD dst_unused:UNUSED_PAD src0_sel:WORD_1 src1_sel:DWORD
	v_lshrrev_b32_e32 v72, 16, v20
	v_fma_f16 v37, v32, v18, v37
	v_mul_f16_sdwa v18, v32, v18 dst_sel:DWORD dst_unused:UNUSED_PAD src0_sel:WORD_1 src1_sel:DWORD
	v_fma_f16 v18, v32, v71, -v18
	v_mul_f16_sdwa v32, v33, v72 dst_sel:DWORD dst_unused:UNUSED_PAD src0_sel:WORD_1 src1_sel:DWORD
	;; [unrolled: 5-line block ×3, first 2 shown]
	s_waitcnt lgkmcnt(2)
	v_lshrrev_b32_e32 v75, 16, v23
	v_fma_f16 v33, v34, v22, v33
	v_mul_f16_sdwa v22, v34, v22 dst_sel:DWORD dst_unused:UNUSED_PAD src0_sel:WORD_1 src1_sel:DWORD
	v_fma_f16 v22, v34, v73, -v22
	v_mul_f16_sdwa v34, v38, v75 dst_sel:DWORD dst_unused:UNUSED_PAD src0_sel:WORD_1 src1_sel:DWORD
	s_waitcnt lgkmcnt(1)
	v_lshrrev_b32_e32 v76, 16, v50
	v_fma_f16 v34, v38, v23, v34
	v_mul_f16_sdwa v23, v38, v23 dst_sel:DWORD dst_unused:UNUSED_PAD src0_sel:WORD_1 src1_sel:DWORD
	v_mad_u64_u32 v[1:2], s[6:7], s2, v87, 0
	v_fma_f16 v23, v38, v75, -v23
	v_mul_f16_sdwa v38, v39, v76 dst_sel:DWORD dst_unused:UNUSED_PAD src0_sel:WORD_1 src1_sel:DWORD
	s_waitcnt lgkmcnt(0)
	v_lshrrev_b32_e32 v77, 16, v52
	v_fma_f16 v38, v39, v50, v38
	v_mul_f16_sdwa v50, v39, v50 dst_sel:DWORD dst_unused:UNUSED_PAD src0_sel:WORD_1 src1_sel:DWORD
	v_fma_f16 v39, v39, v76, -v50
	v_mul_f16_sdwa v50, v40, v77 dst_sel:DWORD dst_unused:UNUSED_PAD src0_sel:WORD_1 src1_sel:DWORD
	v_lshrrev_b32_e32 v79, 16, v24
	v_fma_f16 v50, v40, v52, v50
	v_mul_f16_sdwa v52, v40, v52 dst_sel:DWORD dst_unused:UNUSED_PAD src0_sel:WORD_1 src1_sel:DWORD
	v_mad_u64_u32 v[2:3], s[2:3], s3, v87, v[2:3]
	v_fma_f16 v40, v40, v77, -v52
	v_mul_f16_sdwa v52, v41, v79 dst_sel:DWORD dst_unused:UNUSED_PAD src0_sel:WORD_1 src1_sel:DWORD
	ds_read2st64_b32 v[3:4], v83 offset0:48 offset1:56
	ds_read2st64_b32 v[54:55], v83 offset0:112 offset1:120
	;; [unrolled: 1-line block ×3, first 2 shown]
	v_lshrrev_b32_e32 v80, 16, v51
	v_fma_f16 v52, v41, v24, v52
	v_mul_f16_sdwa v24, v41, v24 dst_sel:DWORD dst_unused:UNUSED_PAD src0_sel:WORD_1 src1_sel:DWORD
	v_fma_f16 v24, v41, v79, -v24
	v_mul_f16_sdwa v41, v42, v80 dst_sel:DWORD dst_unused:UNUSED_PAD src0_sel:WORD_1 src1_sel:DWORD
	v_lshrrev_b32_e32 v81, 16, v53
	v_fma_f16 v41, v42, v51, v41
	v_mul_f16_sdwa v51, v42, v51 dst_sel:DWORD dst_unused:UNUSED_PAD src0_sel:WORD_1 src1_sel:DWORD
	ds_read2st64_b32 v[58:59], v83 offset0:240 offset1:248
	v_fma_f16 v42, v42, v80, -v51
	v_mul_f16_sdwa v51, v43, v81 dst_sel:DWORD dst_unused:UNUSED_PAD src0_sel:WORD_1 src1_sel:DWORD
	s_waitcnt lgkmcnt(2)
	v_lshrrev_b32_e32 v84, 16, v54
	v_fma_f16 v51, v43, v53, v51
	v_mul_f16_sdwa v53, v43, v53 dst_sel:DWORD dst_unused:UNUSED_PAD src0_sel:WORD_1 src1_sel:DWORD
	v_fma_f16 v43, v43, v81, -v53
	v_mul_f16_sdwa v53, v47, v84 dst_sel:DWORD dst_unused:UNUSED_PAD src0_sel:WORD_1 src1_sel:DWORD
	v_lshrrev_b32_e32 v61, 16, v13
	s_waitcnt lgkmcnt(1)
	v_lshrrev_b32_e32 v85, 16, v56
	v_fma_f16 v53, v47, v54, v53
	v_mul_f16_sdwa v54, v47, v54 dst_sel:DWORD dst_unused:UNUSED_PAD src0_sel:WORD_1 src1_sel:DWORD
	v_mul_f16_sdwa v30, v31, v61 dst_sel:DWORD dst_unused:UNUSED_PAD src0_sel:WORD_1 src1_sel:DWORD
	v_fma_f16 v47, v47, v84, -v54
	v_mul_f16_sdwa v54, v48, v85 dst_sel:DWORD dst_unused:UNUSED_PAD src0_sel:WORD_1 src1_sel:DWORD
	v_mul_f16_sdwa v29, v31, v13 dst_sel:DWORD dst_unused:UNUSED_PAD src0_sel:WORD_1 src1_sel:DWORD
	v_fma_f16 v13, v31, v13, v30
	s_waitcnt lgkmcnt(0)
	v_lshrrev_b32_e32 v30, 16, v58
	v_fma_f16 v54, v48, v56, v54
	v_mul_f16_sdwa v56, v48, v56 dst_sel:DWORD dst_unused:UNUSED_PAD src0_sel:WORD_1 src1_sel:DWORD
	v_fma_f16 v48, v48, v85, -v56
	v_mul_f16_sdwa v56, v49, v30 dst_sel:DWORD dst_unused:UNUSED_PAD src0_sel:WORD_1 src1_sel:DWORD
	v_fma_f16 v29, v31, v61, -v29
	v_lshrrev_b32_e32 v61, 16, v55
	v_fma_f16 v56, v49, v58, v56
	v_mul_f16_sdwa v58, v49, v58 dst_sel:DWORD dst_unused:UNUSED_PAD src0_sel:WORD_1 src1_sel:DWORD
	v_fma_f16 v30, v49, v30, -v58
	v_mul_f16_sdwa v49, v44, v61 dst_sel:DWORD dst_unused:UNUSED_PAD src0_sel:WORD_1 src1_sel:DWORD
	v_lshrrev_b32_e32 v63, 16, v57
	v_fma_f16 v49, v44, v55, v49
	v_mul_f16_sdwa v55, v44, v55 dst_sel:DWORD dst_unused:UNUSED_PAD src0_sel:WORD_1 src1_sel:DWORD
	v_fma_f16 v44, v44, v61, -v55
	v_mul_f16_sdwa v55, v45, v63 dst_sel:DWORD dst_unused:UNUSED_PAD src0_sel:WORD_1 src1_sel:DWORD
	v_lshrrev_b32_e32 v0, 16, v7
	v_lshrrev_b32_e32 v62, 16, v8
	;; [unrolled: 1-line block ×3, first 2 shown]
	v_fma_f16 v55, v45, v57, v55
	v_mul_f16_sdwa v57, v45, v57 dst_sel:DWORD dst_unused:UNUSED_PAD src0_sel:WORD_1 src1_sel:DWORD
	v_fma_f16 v45, v45, v63, -v57
	v_mul_f16_sdwa v57, v46, v64 dst_sel:DWORD dst_unused:UNUSED_PAD src0_sel:WORD_1 src1_sel:DWORD
	v_mul_f16_sdwa v58, v46, v59 dst_sel:DWORD dst_unused:UNUSED_PAD src0_sel:WORD_1 src1_sel:DWORD
	v_sub_f16_e32 v25, v7, v25
	v_sub_f16_e32 v11, v0, v11
	;; [unrolled: 1-line block ×8, first 2 shown]
	v_fma_f16 v57, v46, v59, v57
	v_fma_f16 v46, v46, v64, -v58
	v_fma_f16 v7, v7, 2.0, -v25
	v_fma_f16 v0, v0, 2.0, -v11
	;; [unrolled: 1-line block ×8, first 2 shown]
	v_sub_f16_e32 v58, v7, v58
	v_sub_f16_e32 v9, v0, v9
	;; [unrolled: 1-line block ×4, first 2 shown]
	v_lshrrev_b32_e32 v66, 16, v15
	v_lshrrev_b32_e32 v70, 16, v16
	v_fma_f16 v7, v7, 2.0, -v58
	v_fma_f16 v0, v0, 2.0, -v9
	v_add_f16_e32 v29, v25, v29
	v_sub_f16_e32 v13, v11, v13
	v_fma_f16 v8, v8, 2.0, -v60
	v_fma_f16 v59, v59, 2.0, -v10
	v_add_f16_e32 v14, v26, v14
	v_sub_f16_e32 v27, v12, v27
	v_fma_f16 v25, v25, 2.0, -v29
	v_fma_f16 v11, v11, 2.0, -v13
	;; [unrolled: 1-line block ×4, first 2 shown]
	v_sub_f16_e32 v35, v15, v35
	v_sub_f16_e32 v19, v66, v19
	;; [unrolled: 1-line block ×8, first 2 shown]
	v_pack_b32_f16 v0, v7, v0
	v_pack_b32_f16 v8, v8, v59
	v_fma_f16 v15, v15, 2.0, -v35
	v_fma_f16 v61, v66, 2.0, -v19
	;; [unrolled: 1-line block ×8, first 2 shown]
	v_pack_b32_f16 v7, v25, v11
	ds_write2st64_b32 v83, v0, v8 offset1:8
	v_pack_b32_f16 v0, v26, v12
	v_sub_f16_e32 v28, v15, v28
	v_sub_f16_e32 v17, v61, v17
	;; [unrolled: 1-line block ×4, first 2 shown]
	v_pack_b32_f16 v9, v58, v9
	ds_write2st64_b32 v83, v7, v0 offset0:64 offset1:72
	v_pack_b32_f16 v0, v60, v10
	v_lshrrev_b32_e32 v74, 16, v5
	v_lshrrev_b32_e32 v78, 16, v6
	v_fma_f16 v15, v15, 2.0, -v28
	v_fma_f16 v61, v61, 2.0, -v17
	v_add_f16_e32 v21, v35, v21
	v_sub_f16_e32 v36, v19, v36
	v_fma_f16 v16, v16, 2.0, -v37
	v_fma_f16 v62, v62, 2.0, -v18
	v_add_f16_e32 v22, v32, v22
	v_sub_f16_e32 v33, v20, v33
	v_pack_b32_f16 v11, v29, v13
	ds_write2st64_b32 v83, v9, v0 offset0:128 offset1:136
	v_pack_b32_f16 v0, v14, v27
	v_fma_f16 v35, v35, 2.0, -v21
	v_fma_f16 v19, v19, 2.0, -v36
	;; [unrolled: 1-line block ×4, first 2 shown]
	v_sub_f16_e32 v38, v5, v38
	v_sub_f16_e32 v39, v74, v39
	;; [unrolled: 1-line block ×8, first 2 shown]
	ds_write2st64_b32 v83, v11, v0 offset0:192 offset1:200
	v_pack_b32_f16 v0, v15, v61
	v_pack_b32_f16 v10, v16, v62
	v_fma_f16 v5, v5, 2.0, -v38
	v_fma_f16 v63, v74, 2.0, -v39
	;; [unrolled: 1-line block ×8, first 2 shown]
	v_pack_b32_f16 v7, v35, v19
	ds_write2st64_b32 v83, v0, v10 offset0:16 offset1:24
	v_pack_b32_f16 v0, v32, v20
	v_sub_f16_e32 v34, v5, v34
	v_sub_f16_e32 v23, v63, v23
	;; [unrolled: 1-line block ×4, first 2 shown]
	v_pack_b32_f16 v8, v28, v17
	ds_write2st64_b32 v83, v7, v0 offset0:80 offset1:88
	v_pack_b32_f16 v0, v37, v18
	v_lshrrev_b32_e32 v82, 16, v3
	v_lshrrev_b32_e32 v31, 16, v4
	v_fma_f16 v5, v5, 2.0, -v34
	v_fma_f16 v63, v63, 2.0, -v23
	v_add_f16_e32 v40, v38, v40
	v_sub_f16_e32 v50, v39, v50
	v_fma_f16 v6, v6, 2.0, -v52
	v_fma_f16 v64, v64, 2.0, -v24
	v_add_f16_e32 v43, v41, v43
	v_sub_f16_e32 v51, v42, v51
	v_pack_b32_f16 v9, v21, v36
	ds_write2st64_b32 v83, v8, v0 offset0:144 offset1:152
	v_pack_b32_f16 v0, v22, v33
	v_fma_f16 v38, v38, 2.0, -v40
	v_fma_f16 v39, v39, 2.0, -v50
	v_fma_f16 v41, v41, 2.0, -v43
	v_fma_f16 v42, v42, 2.0, -v51
	v_sub_f16_e32 v54, v3, v54
	v_sub_f16_e32 v48, v82, v48
	;; [unrolled: 1-line block ×8, first 2 shown]
	ds_write2st64_b32 v83, v9, v0 offset0:208 offset1:216
	v_pack_b32_f16 v0, v5, v63
	v_pack_b32_f16 v6, v6, v64
	v_fma_f16 v3, v3, 2.0, -v54
	v_fma_f16 v65, v82, 2.0, -v48
	;; [unrolled: 1-line block ×8, first 2 shown]
	v_pack_b32_f16 v5, v38, v39
	ds_write2st64_b32 v83, v0, v6 offset0:32 offset1:40
	v_pack_b32_f16 v0, v41, v42
	v_sub_f16_e32 v53, v3, v53
	v_sub_f16_e32 v47, v65, v47
	;; [unrolled: 1-line block ×4, first 2 shown]
	v_pack_b32_f16 v7, v34, v23
	ds_write2st64_b32 v83, v5, v0 offset0:96 offset1:104
	v_pack_b32_f16 v0, v52, v24
	v_fma_f16 v3, v3, 2.0, -v53
	v_fma_f16 v65, v65, 2.0, -v47
	v_add_f16_e32 v30, v54, v30
	v_sub_f16_e32 v56, v48, v56
	v_fma_f16 v4, v4, 2.0, -v49
	v_fma_f16 v31, v31, 2.0, -v44
	v_add_f16_e32 v46, v55, v46
	v_sub_f16_e32 v57, v45, v57
	v_pack_b32_f16 v8, v40, v50
	ds_write2st64_b32 v83, v7, v0 offset0:160 offset1:168
	v_pack_b32_f16 v0, v43, v51
	v_fma_f16 v54, v54, 2.0, -v30
	v_fma_f16 v48, v48, 2.0, -v56
	;; [unrolled: 1-line block ×4, first 2 shown]
	ds_write2st64_b32 v83, v8, v0 offset0:224 offset1:232
	v_pack_b32_f16 v0, v3, v65
	v_pack_b32_f16 v4, v4, v31
	;; [unrolled: 1-line block ×3, first 2 shown]
	ds_write2st64_b32 v83, v0, v4 offset0:48 offset1:56
	v_pack_b32_f16 v0, v55, v45
	v_pack_b32_f16 v5, v53, v47
	ds_write2st64_b32 v83, v3, v0 offset0:112 offset1:120
	v_pack_b32_f16 v0, v49, v44
	v_pack_b32_f16 v6, v30, v56
	ds_write2st64_b32 v83, v5, v0 offset0:176 offset1:184
	v_pack_b32_f16 v0, v46, v57
	ds_write2st64_b32 v83, v6, v0 offset0:240 offset1:248
	s_waitcnt lgkmcnt(0)
	s_barrier
	buffer_load_dword v10, off, s[20:23], 0 offset:36 ; 4-byte Folded Reload
	ds_read2st64_b32 v[3:4], v83 offset1:8
	v_mad_u64_u32 v[5:6], s[6:7], s0, v100, 0
	s_load_dwordx2 s[2:3], s[4:5], 0x38
	s_movk_i32 s4, 0x400
	s_waitcnt lgkmcnt(0)
	v_lshrrev_b32_e32 v8, 16, v3
	buffer_load_dword v11, off, s[20:23], 0 offset:8 ; 4-byte Folded Reload
	buffer_load_dword v13, off, s[20:23], 0 offset:4 ; 4-byte Folded Reload
	ds_read2st64_b32 v[15:16], v83 offset0:224 offset1:232
	ds_read2st64_b32 v[17:18], v83 offset0:240 offset1:248
	s_waitcnt vmcnt(2)
	v_mul_f16_sdwa v0, v10, v8 dst_sel:DWORD dst_unused:UNUSED_PAD src0_sel:WORD_1 src1_sel:DWORD
	v_fma_f16 v0, v10, v3, v0
	v_mul_f16_e32 v9, 0x400, v0
	v_mov_b32_e32 v0, v6
	v_mad_u64_u32 v[6:7], s[6:7], s1, v100, v[0:1]
	v_mul_f16_sdwa v0, v10, v3 dst_sel:DWORD dst_unused:UNUSED_PAD src0_sel:WORD_1 src1_sel:DWORD
	v_fma_f16 v0, v10, v8, -v0
	v_mul_f16_sdwa v0, v0, s4 dst_sel:WORD_1 dst_unused:UNUSED_PAD src0_sel:DWORD src1_sel:DWORD
	v_or_b32_e32 v7, v0, v9
	v_lshlrev_b64 v[0:1], 2, v[1:2]
	v_mov_b32_e32 v2, s3
	v_add_co_u32_e32 v8, vcc, s2, v0
	v_addc_co_u32_e32 v9, vcc, v2, v1, vcc
	v_lshlrev_b64 v[0:1], 2, v[5:6]
	buffer_load_dword v10, off, s[20:23], 0 offset:12 ; 4-byte Folded Reload
	v_add_co_u32_e32 v5, vcc, v8, v0
	v_addc_co_u32_e32 v6, vcc, v9, v1, vcc
	global_store_dword v[5:6], v7, off
	buffer_load_dword v7, off, s[20:23], 0 offset:24 ; 4-byte Folded Reload
	ds_read2st64_b32 v[2:3], v83 offset0:32 offset1:40
	buffer_load_dword v9, off, s[20:23], 0 offset:16 ; 4-byte Folded Reload
	s_lshl_b64 s[2:3], s[0:1], 13
	v_add_co_u32_e32 v5, vcc, s2, v5
	s_waitcnt lgkmcnt(0)
	v_lshrrev_b32_e32 v0, 16, v2
	s_mul_i32 s1, s1, 0xffff2800
	s_waitcnt vmcnt(1)
	v_mul_f16_sdwa v1, v7, v0 dst_sel:DWORD dst_unused:UNUSED_PAD src0_sel:WORD_1 src1_sel:DWORD
	v_fma_f16 v1, v7, v2, v1
	v_mul_f16_sdwa v2, v7, v2 dst_sel:DWORD dst_unused:UNUSED_PAD src0_sel:WORD_1 src1_sel:DWORD
	v_fma_f16 v0, v7, v0, -v2
	v_mul_f16_e32 v1, 0x400, v1
	v_mul_f16_sdwa v0, v0, s4 dst_sel:WORD_1 dst_unused:UNUSED_PAD src0_sel:DWORD src1_sel:DWORD
	v_or_b32_e32 v7, v0, v1
	ds_read2st64_b32 v[1:2], v83 offset0:64 offset1:72
	v_mov_b32_e32 v0, s3
	v_addc_co_u32_e32 v6, vcc, v6, v0, vcc
	global_store_dword v[5:6], v7, off
	s_waitcnt lgkmcnt(0)
	v_lshrrev_b32_e32 v7, 16, v1
	s_waitcnt vmcnt(1)
	v_mul_f16_sdwa v8, v9, v7 dst_sel:DWORD dst_unused:UNUSED_PAD src0_sel:WORD_1 src1_sel:DWORD
	v_fma_f16 v8, v9, v1, v8
	v_mul_f16_sdwa v1, v9, v1 dst_sel:DWORD dst_unused:UNUSED_PAD src0_sel:WORD_1 src1_sel:DWORD
	v_fma_f16 v1, v9, v7, -v1
	v_mul_f16_e32 v8, 0x400, v8
	v_mul_f16_sdwa v1, v1, s4 dst_sel:WORD_1 dst_unused:UNUSED_PAD src0_sel:DWORD src1_sel:DWORD
	v_or_b32_e32 v1, v1, v8
	ds_read2st64_b32 v[7:8], v83 offset0:96 offset1:104
	v_add_co_u32_e32 v5, vcc, s2, v5
	v_addc_co_u32_e32 v6, vcc, v6, v0, vcc
	global_store_dword v[5:6], v1, off
	s_waitcnt lgkmcnt(0)
	v_lshrrev_b32_e32 v1, 16, v7
	v_mul_f16_sdwa v9, v10, v1 dst_sel:DWORD dst_unused:UNUSED_PAD src0_sel:WORD_1 src1_sel:DWORD
	v_fma_f16 v9, v10, v7, v9
	v_mul_f16_sdwa v7, v10, v7 dst_sel:DWORD dst_unused:UNUSED_PAD src0_sel:WORD_1 src1_sel:DWORD
	v_fma_f16 v1, v10, v1, -v7
	v_mul_f16_e32 v9, 0x400, v9
	v_mul_f16_sdwa v1, v1, s4 dst_sel:WORD_1 dst_unused:UNUSED_PAD src0_sel:DWORD src1_sel:DWORD
	v_or_b32_e32 v1, v1, v9
	ds_read2st64_b32 v[9:10], v83 offset0:128 offset1:136
	v_add_co_u32_e32 v5, vcc, s2, v5
	v_addc_co_u32_e32 v6, vcc, v6, v0, vcc
	global_store_dword v[5:6], v1, off
	s_waitcnt lgkmcnt(0)
	v_lshrrev_b32_e32 v1, 16, v9
	v_mul_f16_sdwa v7, v11, v1 dst_sel:DWORD dst_unused:UNUSED_PAD src0_sel:WORD_1 src1_sel:DWORD
	v_fma_f16 v7, v11, v9, v7
	v_mul_f16_sdwa v9, v11, v9 dst_sel:DWORD dst_unused:UNUSED_PAD src0_sel:WORD_1 src1_sel:DWORD
	v_fma_f16 v1, v11, v1, -v9
	ds_read2st64_b32 v[11:12], v83 offset0:160 offset1:168
	v_mul_f16_e32 v7, 0x400, v7
	v_mul_f16_sdwa v1, v1, s4 dst_sel:WORD_1 dst_unused:UNUSED_PAD src0_sel:DWORD src1_sel:DWORD
	v_add_co_u32_e32 v5, vcc, s2, v5
	v_or_b32_e32 v1, v1, v7
	v_addc_co_u32_e32 v6, vcc, v6, v0, vcc
	global_store_dword v[5:6], v1, off
	s_waitcnt lgkmcnt(0)
	v_lshrrev_b32_e32 v1, 16, v11
	v_mul_f16_sdwa v7, v13, v1 dst_sel:DWORD dst_unused:UNUSED_PAD src0_sel:WORD_1 src1_sel:DWORD
	v_fma_f16 v7, v13, v11, v7
	v_mul_f16_sdwa v9, v13, v11 dst_sel:DWORD dst_unused:UNUSED_PAD src0_sel:WORD_1 src1_sel:DWORD
	buffer_load_dword v11, off, s[20:23], 0 ; 4-byte Folded Reload
	v_fma_f16 v1, v13, v1, -v9
	ds_read2st64_b32 v[13:14], v83 offset0:192 offset1:200
	v_mul_f16_e32 v7, 0x400, v7
	v_mul_f16_sdwa v1, v1, s4 dst_sel:WORD_1 dst_unused:UNUSED_PAD src0_sel:DWORD src1_sel:DWORD
	v_add_co_u32_e32 v5, vcc, s2, v5
	v_or_b32_e32 v1, v1, v7
	v_addc_co_u32_e32 v6, vcc, v6, v0, vcc
	global_store_dword v[5:6], v1, off
	s_waitcnt lgkmcnt(0)
	v_lshrrev_b32_e32 v1, 16, v13
	v_add_co_u32_e32 v5, vcc, s2, v5
	v_addc_co_u32_e32 v6, vcc, v6, v0, vcc
	s_mul_hi_u32 s3, s0, 0xffff2800
	s_sub_i32 s3, s3, s0
	s_add_i32 s1, s3, s1
	s_mul_i32 s0, s0, 0xffff2800
	s_waitcnt vmcnt(1)
	v_mul_f16_sdwa v7, v11, v1 dst_sel:DWORD dst_unused:UNUSED_PAD src0_sel:WORD_1 src1_sel:DWORD
	v_mul_f16_sdwa v9, v11, v13 dst_sel:DWORD dst_unused:UNUSED_PAD src0_sel:WORD_1 src1_sel:DWORD
	v_fma_f16 v7, v11, v13, v7
	v_fma_f16 v1, v11, v1, -v9
	v_mul_f16_e32 v7, 0x400, v7
	v_mul_f16_sdwa v1, v1, s4 dst_sel:WORD_1 dst_unused:UNUSED_PAD src0_sel:DWORD src1_sel:DWORD
	v_or_b32_e32 v1, v1, v7
	global_store_dword v[5:6], v1, off
	v_lshrrev_b32_e32 v1, 16, v15
	v_mul_f16_sdwa v9, v102, v15 dst_sel:DWORD dst_unused:UNUSED_PAD src0_sel:WORD_1 src1_sel:DWORD
	v_mul_f16_sdwa v7, v102, v1 dst_sel:DWORD dst_unused:UNUSED_PAD src0_sel:WORD_1 src1_sel:DWORD
	v_fma_f16 v1, v102, v1, -v9
	buffer_load_dword v9, off, s[20:23], 0 offset:64 ; 4-byte Folded Reload
	v_fma_f16 v7, v102, v15, v7
	v_mul_f16_e32 v7, 0x400, v7
	v_mul_f16_sdwa v1, v1, s4 dst_sel:WORD_1 dst_unused:UNUSED_PAD src0_sel:DWORD src1_sel:DWORD
	v_add_co_u32_e32 v5, vcc, s2, v5
	v_or_b32_e32 v1, v1, v7
	v_addc_co_u32_e32 v6, vcc, v6, v0, vcc
	global_store_dword v[5:6], v1, off
	v_lshrrev_b32_e32 v1, 16, v4
	s_waitcnt vmcnt(1)
	v_mul_f16_sdwa v7, v9, v1 dst_sel:DWORD dst_unused:UNUSED_PAD src0_sel:WORD_1 src1_sel:DWORD
	v_fma_f16 v7, v9, v4, v7
	v_mul_f16_sdwa v4, v9, v4 dst_sel:DWORD dst_unused:UNUSED_PAD src0_sel:WORD_1 src1_sel:DWORD
	v_fma_f16 v1, v9, v1, -v4
	v_mul_f16_e32 v7, 0x400, v7
	v_mul_f16_sdwa v1, v1, s4 dst_sel:WORD_1 dst_unused:UNUSED_PAD src0_sel:DWORD src1_sel:DWORD
	v_or_b32_e32 v1, v1, v7
	v_mov_b32_e32 v7, s1
	v_add_co_u32_e32 v4, vcc, s0, v5
	v_addc_co_u32_e32 v5, vcc, v6, v7, vcc
	buffer_load_dword v7, off, s[20:23], 0 offset:60 ; 4-byte Folded Reload
	buffer_load_dword v9, off, s[20:23], 0 offset:20 ; 4-byte Folded Reload
	s_nop 0
	global_store_dword v[4:5], v1, off
	v_lshrrev_b32_e32 v1, 16, v3
	s_waitcnt vmcnt(2)
	v_mul_f16_sdwa v6, v7, v1 dst_sel:DWORD dst_unused:UNUSED_PAD src0_sel:WORD_1 src1_sel:DWORD
	v_fma_f16 v6, v7, v3, v6
	v_mul_f16_sdwa v3, v7, v3 dst_sel:DWORD dst_unused:UNUSED_PAD src0_sel:WORD_1 src1_sel:DWORD
	v_fma_f16 v1, v7, v1, -v3
	v_mul_f16_e32 v6, 0x400, v6
	v_mul_f16_sdwa v1, v1, s4 dst_sel:WORD_1 dst_unused:UNUSED_PAD src0_sel:DWORD src1_sel:DWORD
	v_or_b32_e32 v1, v1, v6
	buffer_load_dword v6, off, s[20:23], 0 offset:56 ; 4-byte Folded Reload
	v_add_co_u32_e32 v3, vcc, s2, v4
	v_addc_co_u32_e32 v4, vcc, v5, v0, vcc
	global_store_dword v[3:4], v1, off
	v_lshrrev_b32_e32 v1, 16, v2
	buffer_load_dword v7, off, s[20:23], 0 offset:32 ; 4-byte Folded Reload
	s_waitcnt vmcnt(2)
	v_mul_f16_sdwa v5, v6, v1 dst_sel:DWORD dst_unused:UNUSED_PAD src0_sel:WORD_1 src1_sel:DWORD
	v_fma_f16 v5, v6, v2, v5
	v_mul_f16_sdwa v2, v6, v2 dst_sel:DWORD dst_unused:UNUSED_PAD src0_sel:WORD_1 src1_sel:DWORD
	v_fma_f16 v1, v6, v1, -v2
	buffer_load_dword v6, off, s[20:23], 0 offset:52 ; 4-byte Folded Reload
	v_mul_f16_e32 v5, 0x400, v5
	v_mul_f16_sdwa v1, v1, s4 dst_sel:WORD_1 dst_unused:UNUSED_PAD src0_sel:DWORD src1_sel:DWORD
	v_or_b32_e32 v5, v1, v5
	v_add_co_u32_e32 v1, vcc, s2, v3
	v_addc_co_u32_e32 v2, vcc, v4, v0, vcc
	v_lshrrev_b32_e32 v3, 16, v8
	global_store_dword v[1:2], v5, off
	v_add_co_u32_e32 v1, vcc, s2, v1
	v_addc_co_u32_e32 v2, vcc, v2, v0, vcc
	s_waitcnt vmcnt(1)
	v_mul_f16_sdwa v4, v6, v3 dst_sel:DWORD dst_unused:UNUSED_PAD src0_sel:WORD_1 src1_sel:DWORD
	v_mul_f16_sdwa v5, v6, v8 dst_sel:DWORD dst_unused:UNUSED_PAD src0_sel:WORD_1 src1_sel:DWORD
	v_fma_f16 v4, v6, v8, v4
	buffer_load_dword v8, off, s[20:23], 0 offset:28 ; 4-byte Folded Reload
	v_fma_f16 v3, v6, v3, -v5
	buffer_load_dword v6, off, s[20:23], 0 offset:48 ; 4-byte Folded Reload
	v_mul_f16_e32 v4, 0x400, v4
	v_mul_f16_sdwa v3, v3, s4 dst_sel:WORD_1 dst_unused:UNUSED_PAD src0_sel:DWORD src1_sel:DWORD
	v_or_b32_e32 v3, v3, v4
	global_store_dword v[1:2], v3, off
	v_lshrrev_b32_e32 v3, 16, v10
	v_add_co_u32_e32 v1, vcc, s2, v1
	v_addc_co_u32_e32 v2, vcc, v2, v0, vcc
	s_waitcnt vmcnt(1)
	v_mul_f16_sdwa v4, v6, v3 dst_sel:DWORD dst_unused:UNUSED_PAD src0_sel:WORD_1 src1_sel:DWORD
	v_mul_f16_sdwa v5, v6, v10 dst_sel:DWORD dst_unused:UNUSED_PAD src0_sel:WORD_1 src1_sel:DWORD
	v_fma_f16 v4, v6, v10, v4
	v_fma_f16 v3, v6, v3, -v5
	buffer_load_dword v6, off, s[20:23], 0 offset:44 ; 4-byte Folded Reload
	v_mul_f16_e32 v4, 0x400, v4
	v_mul_f16_sdwa v3, v3, s4 dst_sel:WORD_1 dst_unused:UNUSED_PAD src0_sel:DWORD src1_sel:DWORD
	v_or_b32_e32 v3, v3, v4
	global_store_dword v[1:2], v3, off
	v_lshrrev_b32_e32 v3, 16, v12
	v_add_co_u32_e32 v1, vcc, s2, v1
	v_addc_co_u32_e32 v2, vcc, v2, v0, vcc
	s_waitcnt vmcnt(1)
	v_mul_f16_sdwa v4, v6, v3 dst_sel:DWORD dst_unused:UNUSED_PAD src0_sel:WORD_1 src1_sel:DWORD
	v_mul_f16_sdwa v5, v6, v12 dst_sel:DWORD dst_unused:UNUSED_PAD src0_sel:WORD_1 src1_sel:DWORD
	v_fma_f16 v4, v6, v12, v4
	v_fma_f16 v3, v6, v3, -v5
	buffer_load_dword v6, off, s[20:23], 0 offset:40 ; 4-byte Folded Reload
	v_mul_f16_e32 v4, 0x400, v4
	v_mul_f16_sdwa v3, v3, s4 dst_sel:WORD_1 dst_unused:UNUSED_PAD src0_sel:DWORD src1_sel:DWORD
	v_or_b32_e32 v3, v3, v4
	global_store_dword v[1:2], v3, off
	v_lshrrev_b32_e32 v3, 16, v14
	v_add_co_u32_e32 v1, vcc, s2, v1
	v_addc_co_u32_e32 v2, vcc, v2, v0, vcc
	ds_read2st64_b32 v[11:12], v83 offset0:144 offset1:152
	s_waitcnt vmcnt(1)
	v_mul_f16_sdwa v4, v6, v3 dst_sel:DWORD dst_unused:UNUSED_PAD src0_sel:WORD_1 src1_sel:DWORD
	v_mul_f16_sdwa v5, v6, v14 dst_sel:DWORD dst_unused:UNUSED_PAD src0_sel:WORD_1 src1_sel:DWORD
	v_fma_f16 v4, v6, v14, v4
	v_fma_f16 v3, v6, v3, -v5
	v_mul_f16_e32 v4, 0x400, v4
	v_mul_f16_sdwa v3, v3, s4 dst_sel:WORD_1 dst_unused:UNUSED_PAD src0_sel:DWORD src1_sel:DWORD
	v_or_b32_e32 v3, v3, v4
	global_store_dword v[1:2], v3, off
	v_lshrrev_b32_e32 v3, 16, v16
	v_mul_f16_sdwa v4, v101, v3 dst_sel:DWORD dst_unused:UNUSED_PAD src0_sel:WORD_1 src1_sel:DWORD
	v_mul_f16_sdwa v5, v101, v16 dst_sel:DWORD dst_unused:UNUSED_PAD src0_sel:WORD_1 src1_sel:DWORD
	v_fma_f16 v4, v101, v16, v4
	v_fma_f16 v3, v101, v3, -v5
	v_mul_f16_e32 v4, 0x400, v4
	v_mul_f16_sdwa v3, v3, s4 dst_sel:WORD_1 dst_unused:UNUSED_PAD src0_sel:DWORD src1_sel:DWORD
	v_or_b32_e32 v5, v3, v4
	ds_read2st64_b32 v[3:4], v83 offset0:16 offset1:24
	v_add_co_u32_e32 v1, vcc, s2, v1
	v_addc_co_u32_e32 v2, vcc, v2, v0, vcc
	global_store_dword v[1:2], v5, off
	s_waitcnt lgkmcnt(0)
	v_lshrrev_b32_e32 v5, 16, v3
	v_mul_f16_sdwa v6, v7, v5 dst_sel:DWORD dst_unused:UNUSED_PAD src0_sel:WORD_1 src1_sel:DWORD
	v_fma_f16 v6, v7, v3, v6
	v_mul_f16_sdwa v3, v7, v3 dst_sel:DWORD dst_unused:UNUSED_PAD src0_sel:WORD_1 src1_sel:DWORD
	v_fma_f16 v3, v7, v5, -v3
	v_mul_f16_e32 v6, 0x400, v6
	v_mul_f16_sdwa v3, v3, s4 dst_sel:WORD_1 dst_unused:UNUSED_PAD src0_sel:DWORD src1_sel:DWORD
	v_or_b32_e32 v3, v3, v6
	ds_read2st64_b32 v[5:6], v83 offset0:48 offset1:56
	v_mov_b32_e32 v7, s1
	v_add_co_u32_e32 v1, vcc, s0, v1
	v_addc_co_u32_e32 v2, vcc, v2, v7, vcc
	global_store_dword v[1:2], v3, off
	s_waitcnt lgkmcnt(0)
	v_lshrrev_b32_e32 v3, 16, v5
	v_mul_f16_sdwa v7, v8, v3 dst_sel:DWORD dst_unused:UNUSED_PAD src0_sel:WORD_1 src1_sel:DWORD
	v_fma_f16 v7, v8, v5, v7
	v_mul_f16_sdwa v5, v8, v5 dst_sel:DWORD dst_unused:UNUSED_PAD src0_sel:WORD_1 src1_sel:DWORD
	v_fma_f16 v3, v8, v3, -v5
	v_mul_f16_e32 v7, 0x400, v7
	v_mul_f16_sdwa v3, v3, s4 dst_sel:WORD_1 dst_unused:UNUSED_PAD src0_sel:DWORD src1_sel:DWORD
	v_or_b32_e32 v3, v3, v7
	ds_read2st64_b32 v[7:8], v83 offset0:80 offset1:88
	v_add_co_u32_e32 v1, vcc, s2, v1
	v_addc_co_u32_e32 v2, vcc, v2, v0, vcc
	global_store_dword v[1:2], v3, off
	s_waitcnt lgkmcnt(0)
	v_lshrrev_b32_e32 v3, 16, v7
	v_mul_f16_sdwa v5, v9, v3 dst_sel:DWORD dst_unused:UNUSED_PAD src0_sel:WORD_1 src1_sel:DWORD
	v_fma_f16 v5, v9, v7, v5
	v_mul_f16_sdwa v7, v9, v7 dst_sel:DWORD dst_unused:UNUSED_PAD src0_sel:WORD_1 src1_sel:DWORD
	v_fma_f16 v3, v9, v3, -v7
	ds_read2st64_b32 v[9:10], v83 offset0:112 offset1:120
	v_mul_f16_e32 v5, 0x400, v5
	v_mul_f16_sdwa v3, v3, s4 dst_sel:WORD_1 dst_unused:UNUSED_PAD src0_sel:DWORD src1_sel:DWORD
	v_add_co_u32_e32 v1, vcc, s2, v1
	v_or_b32_e32 v3, v3, v5
	v_addc_co_u32_e32 v2, vcc, v2, v0, vcc
	global_store_dword v[1:2], v3, off
	s_waitcnt lgkmcnt(0)
	v_lshrrev_b32_e32 v3, 16, v9
	v_mul_f16_sdwa v5, v115, v3 dst_sel:DWORD dst_unused:UNUSED_PAD src0_sel:WORD_1 src1_sel:DWORD
	v_mul_f16_sdwa v7, v115, v9 dst_sel:DWORD dst_unused:UNUSED_PAD src0_sel:WORD_1 src1_sel:DWORD
	v_fma_f16 v5, v115, v9, v5
	v_fma_f16 v3, v115, v3, -v7
	v_mul_f16_e32 v5, 0x400, v5
	v_mul_f16_sdwa v3, v3, s4 dst_sel:WORD_1 dst_unused:UNUSED_PAD src0_sel:DWORD src1_sel:DWORD
	v_add_co_u32_e32 v1, vcc, s2, v1
	v_or_b32_e32 v3, v3, v5
	v_addc_co_u32_e32 v2, vcc, v2, v0, vcc
	global_store_dword v[1:2], v3, off
	v_lshrrev_b32_e32 v3, 16, v11
	ds_read2st64_b32 v[13:14], v83 offset0:176 offset1:184
	v_mul_f16_sdwa v5, v114, v3 dst_sel:DWORD dst_unused:UNUSED_PAD src0_sel:WORD_1 src1_sel:DWORD
	v_mul_f16_sdwa v7, v114, v11 dst_sel:DWORD dst_unused:UNUSED_PAD src0_sel:WORD_1 src1_sel:DWORD
	v_fma_f16 v5, v114, v11, v5
	v_fma_f16 v3, v114, v3, -v7
	v_mul_f16_e32 v5, 0x400, v5
	v_mul_f16_sdwa v3, v3, s4 dst_sel:WORD_1 dst_unused:UNUSED_PAD src0_sel:DWORD src1_sel:DWORD
	v_add_co_u32_e32 v1, vcc, s2, v1
	v_or_b32_e32 v3, v3, v5
	v_addc_co_u32_e32 v2, vcc, v2, v0, vcc
	global_store_dword v[1:2], v3, off
	s_waitcnt lgkmcnt(0)
	v_lshrrev_b32_e32 v3, 16, v13
	ds_read2st64_b32 v[15:16], v83 offset0:208 offset1:216
	v_mul_f16_sdwa v5, v113, v3 dst_sel:DWORD dst_unused:UNUSED_PAD src0_sel:WORD_1 src1_sel:DWORD
	v_mul_f16_sdwa v7, v113, v13 dst_sel:DWORD dst_unused:UNUSED_PAD src0_sel:WORD_1 src1_sel:DWORD
	v_fma_f16 v5, v113, v13, v5
	v_fma_f16 v3, v113, v3, -v7
	v_mul_f16_e32 v5, 0x400, v5
	v_mul_f16_sdwa v3, v3, s4 dst_sel:WORD_1 dst_unused:UNUSED_PAD src0_sel:DWORD src1_sel:DWORD
	v_add_co_u32_e32 v1, vcc, s2, v1
	v_or_b32_e32 v3, v3, v5
	v_addc_co_u32_e32 v2, vcc, v2, v0, vcc
	global_store_dword v[1:2], v3, off
	s_waitcnt lgkmcnt(0)
	v_lshrrev_b32_e32 v3, 16, v15
	v_mul_f16_sdwa v5, v108, v3 dst_sel:DWORD dst_unused:UNUSED_PAD src0_sel:WORD_1 src1_sel:DWORD
	v_mul_f16_sdwa v7, v108, v15 dst_sel:DWORD dst_unused:UNUSED_PAD src0_sel:WORD_1 src1_sel:DWORD
	v_fma_f16 v5, v108, v15, v5
	v_fma_f16 v3, v108, v3, -v7
	v_mul_f16_e32 v5, 0x400, v5
	v_mul_f16_sdwa v3, v3, s4 dst_sel:WORD_1 dst_unused:UNUSED_PAD src0_sel:DWORD src1_sel:DWORD
	v_add_co_u32_e32 v1, vcc, s2, v1
	v_or_b32_e32 v3, v3, v5
	v_addc_co_u32_e32 v2, vcc, v2, v0, vcc
	global_store_dword v[1:2], v3, off
	v_lshrrev_b32_e32 v3, 16, v17
	v_mul_f16_sdwa v5, v103, v3 dst_sel:DWORD dst_unused:UNUSED_PAD src0_sel:WORD_1 src1_sel:DWORD
	v_mul_f16_sdwa v7, v103, v17 dst_sel:DWORD dst_unused:UNUSED_PAD src0_sel:WORD_1 src1_sel:DWORD
	v_fma_f16 v5, v103, v17, v5
	v_fma_f16 v3, v103, v3, -v7
	v_mul_f16_e32 v5, 0x400, v5
	v_mul_f16_sdwa v3, v3, s4 dst_sel:WORD_1 dst_unused:UNUSED_PAD src0_sel:DWORD src1_sel:DWORD
	v_add_co_u32_e32 v1, vcc, s2, v1
	v_or_b32_e32 v3, v3, v5
	v_addc_co_u32_e32 v2, vcc, v2, v0, vcc
	global_store_dword v[1:2], v3, off
	v_lshrrev_b32_e32 v3, 16, v4
	v_mul_f16_sdwa v5, v105, v3 dst_sel:DWORD dst_unused:UNUSED_PAD src0_sel:WORD_1 src1_sel:DWORD
	v_fma_f16 v5, v105, v4, v5
	v_mul_f16_sdwa v4, v105, v4 dst_sel:DWORD dst_unused:UNUSED_PAD src0_sel:WORD_1 src1_sel:DWORD
	v_fma_f16 v3, v105, v3, -v4
	v_mul_f16_e32 v5, 0x400, v5
	v_mul_f16_sdwa v3, v3, s4 dst_sel:WORD_1 dst_unused:UNUSED_PAD src0_sel:DWORD src1_sel:DWORD
	v_mov_b32_e32 v4, s1
	v_add_co_u32_e32 v1, vcc, s0, v1
	v_or_b32_e32 v3, v3, v5
	v_addc_co_u32_e32 v2, vcc, v2, v4, vcc
	global_store_dword v[1:2], v3, off
	v_lshrrev_b32_e32 v3, 16, v6
	v_mul_f16_sdwa v4, v104, v3 dst_sel:DWORD dst_unused:UNUSED_PAD src0_sel:WORD_1 src1_sel:DWORD
	v_mul_f16_sdwa v5, v104, v6 dst_sel:DWORD dst_unused:UNUSED_PAD src0_sel:WORD_1 src1_sel:DWORD
	v_fma_f16 v4, v104, v6, v4
	v_fma_f16 v3, v104, v3, -v5
	v_mul_f16_e32 v4, 0x400, v4
	v_mul_f16_sdwa v3, v3, s4 dst_sel:WORD_1 dst_unused:UNUSED_PAD src0_sel:DWORD src1_sel:DWORD
	v_add_co_u32_e32 v1, vcc, s2, v1
	v_or_b32_e32 v3, v3, v4
	v_addc_co_u32_e32 v2, vcc, v2, v0, vcc
	global_store_dword v[1:2], v3, off
	v_lshrrev_b32_e32 v3, 16, v8
	v_mul_f16_sdwa v4, v106, v3 dst_sel:DWORD dst_unused:UNUSED_PAD src0_sel:WORD_1 src1_sel:DWORD
	v_mul_f16_sdwa v5, v106, v8 dst_sel:DWORD dst_unused:UNUSED_PAD src0_sel:WORD_1 src1_sel:DWORD
	v_fma_f16 v4, v106, v8, v4
	v_fma_f16 v3, v106, v3, -v5
	v_mul_f16_e32 v4, 0x400, v4
	v_mul_f16_sdwa v3, v3, s4 dst_sel:WORD_1 dst_unused:UNUSED_PAD src0_sel:DWORD src1_sel:DWORD
	;; [unrolled: 11-line block ×7, first 2 shown]
	v_add_co_u32_e32 v1, vcc, s2, v1
	v_or_b32_e32 v3, v3, v4
	v_addc_co_u32_e32 v2, vcc, v2, v0, vcc
	global_store_dword v[1:2], v3, off
.LBB0_2:
	s_endpgm
	.section	.rodata,"a",@progbits
	.p2align	6, 0x0
	.amdhsa_kernel bluestein_single_fwd_len16384_dim1_half_op_CI_CI
		.amdhsa_group_segment_fixed_size 65536
		.amdhsa_private_segment_fixed_size 108
		.amdhsa_kernarg_size 104
		.amdhsa_user_sgpr_count 6
		.amdhsa_user_sgpr_private_segment_buffer 1
		.amdhsa_user_sgpr_dispatch_ptr 0
		.amdhsa_user_sgpr_queue_ptr 0
		.amdhsa_user_sgpr_kernarg_segment_ptr 1
		.amdhsa_user_sgpr_dispatch_id 0
		.amdhsa_user_sgpr_flat_scratch_init 0
		.amdhsa_user_sgpr_private_segment_size 0
		.amdhsa_uses_dynamic_stack 0
		.amdhsa_system_sgpr_private_segment_wavefront_offset 1
		.amdhsa_system_sgpr_workgroup_id_x 1
		.amdhsa_system_sgpr_workgroup_id_y 0
		.amdhsa_system_sgpr_workgroup_id_z 0
		.amdhsa_system_sgpr_workgroup_info 0
		.amdhsa_system_vgpr_workitem_id 0
		.amdhsa_next_free_vgpr 128
		.amdhsa_next_free_sgpr 24
		.amdhsa_reserve_vcc 1
		.amdhsa_reserve_flat_scratch 0
		.amdhsa_float_round_mode_32 0
		.amdhsa_float_round_mode_16_64 0
		.amdhsa_float_denorm_mode_32 3
		.amdhsa_float_denorm_mode_16_64 3
		.amdhsa_dx10_clamp 1
		.amdhsa_ieee_mode 1
		.amdhsa_fp16_overflow 0
		.amdhsa_exception_fp_ieee_invalid_op 0
		.amdhsa_exception_fp_denorm_src 0
		.amdhsa_exception_fp_ieee_div_zero 0
		.amdhsa_exception_fp_ieee_overflow 0
		.amdhsa_exception_fp_ieee_underflow 0
		.amdhsa_exception_fp_ieee_inexact 0
		.amdhsa_exception_int_div_zero 0
	.end_amdhsa_kernel
	.text
.Lfunc_end0:
	.size	bluestein_single_fwd_len16384_dim1_half_op_CI_CI, .Lfunc_end0-bluestein_single_fwd_len16384_dim1_half_op_CI_CI
                                        ; -- End function
	.section	.AMDGPU.csdata,"",@progbits
; Kernel info:
; codeLenInByte = 34824
; NumSgprs: 28
; NumVgprs: 128
; ScratchSize: 108
; MemoryBound: 0
; FloatMode: 240
; IeeeMode: 1
; LDSByteSize: 65536 bytes/workgroup (compile time only)
; SGPRBlocks: 3
; VGPRBlocks: 31
; NumSGPRsForWavesPerEU: 28
; NumVGPRsForWavesPerEU: 128
; Occupancy: 2
; WaveLimiterHint : 1
; COMPUTE_PGM_RSRC2:SCRATCH_EN: 1
; COMPUTE_PGM_RSRC2:USER_SGPR: 6
; COMPUTE_PGM_RSRC2:TRAP_HANDLER: 0
; COMPUTE_PGM_RSRC2:TGID_X_EN: 1
; COMPUTE_PGM_RSRC2:TGID_Y_EN: 0
; COMPUTE_PGM_RSRC2:TGID_Z_EN: 0
; COMPUTE_PGM_RSRC2:TIDIG_COMP_CNT: 0
	.type	__hip_cuid_15e4c5c33e988c02,@object ; @__hip_cuid_15e4c5c33e988c02
	.section	.bss,"aw",@nobits
	.globl	__hip_cuid_15e4c5c33e988c02
__hip_cuid_15e4c5c33e988c02:
	.byte	0                               ; 0x0
	.size	__hip_cuid_15e4c5c33e988c02, 1

	.ident	"AMD clang version 19.0.0git (https://github.com/RadeonOpenCompute/llvm-project roc-6.4.0 25133 c7fe45cf4b819c5991fe208aaa96edf142730f1d)"
	.section	".note.GNU-stack","",@progbits
	.addrsig
	.addrsig_sym __hip_cuid_15e4c5c33e988c02
	.amdgpu_metadata
---
amdhsa.kernels:
  - .args:
      - .actual_access:  read_only
        .address_space:  global
        .offset:         0
        .size:           8
        .value_kind:     global_buffer
      - .actual_access:  read_only
        .address_space:  global
        .offset:         8
        .size:           8
        .value_kind:     global_buffer
      - .actual_access:  read_only
        .address_space:  global
        .offset:         16
        .size:           8
        .value_kind:     global_buffer
      - .actual_access:  read_only
        .address_space:  global
        .offset:         24
        .size:           8
        .value_kind:     global_buffer
      - .actual_access:  read_only
        .address_space:  global
        .offset:         32
        .size:           8
        .value_kind:     global_buffer
      - .offset:         40
        .size:           8
        .value_kind:     by_value
      - .address_space:  global
        .offset:         48
        .size:           8
        .value_kind:     global_buffer
      - .address_space:  global
        .offset:         56
        .size:           8
        .value_kind:     global_buffer
      - .address_space:  global
        .offset:         64
        .size:           8
        .value_kind:     global_buffer
      - .address_space:  global
        .offset:         72
        .size:           8
        .value_kind:     global_buffer
      - .offset:         80
        .size:           4
        .value_kind:     by_value
      - .address_space:  global
        .offset:         88
        .size:           8
        .value_kind:     global_buffer
      - .address_space:  global
        .offset:         96
        .size:           8
        .value_kind:     global_buffer
    .group_segment_fixed_size: 65536
    .kernarg_segment_align: 8
    .kernarg_segment_size: 104
    .language:       OpenCL C
    .language_version:
      - 2
      - 0
    .max_flat_workgroup_size: 512
    .name:           bluestein_single_fwd_len16384_dim1_half_op_CI_CI
    .private_segment_fixed_size: 108
    .sgpr_count:     28
    .sgpr_spill_count: 0
    .symbol:         bluestein_single_fwd_len16384_dim1_half_op_CI_CI.kd
    .uniform_work_group_size: 1
    .uses_dynamic_stack: false
    .vgpr_count:     128
    .vgpr_spill_count: 26
    .wavefront_size: 64
amdhsa.target:   amdgcn-amd-amdhsa--gfx906
amdhsa.version:
  - 1
  - 2
...

	.end_amdgpu_metadata
